;; amdgpu-corpus repo=ROCm/rocFFT kind=compiled arch=gfx950 opt=O3
	.text
	.amdgcn_target "amdgcn-amd-amdhsa--gfx950"
	.amdhsa_code_object_version 6
	.protected	bluestein_single_back_len1040_dim1_sp_op_CI_CI ; -- Begin function bluestein_single_back_len1040_dim1_sp_op_CI_CI
	.globl	bluestein_single_back_len1040_dim1_sp_op_CI_CI
	.p2align	8
	.type	bluestein_single_back_len1040_dim1_sp_op_CI_CI,@function
bluestein_single_back_len1040_dim1_sp_op_CI_CI: ; @bluestein_single_back_len1040_dim1_sp_op_CI_CI
; %bb.0:
	s_load_dwordx4 s[12:15], s[0:1], 0x28
	v_mul_u32_u24_e32 v1, 0x13c, v0
	v_add_u32_sdwa v72, s2, v1 dst_sel:DWORD dst_unused:UNUSED_PAD src0_sel:DWORD src1_sel:WORD_1
	v_mov_b32_e32 v73, 0
	s_waitcnt lgkmcnt(0)
	v_cmp_gt_u64_e32 vcc, s[12:13], v[72:73]
	s_and_saveexec_b64 s[2:3], vcc
	s_cbranch_execz .LBB0_25
; %bb.1:
	s_load_dwordx2 s[12:13], s[0:1], 0x0
	s_load_dwordx2 s[16:17], s[0:1], 0x38
	s_movk_i32 s2, 0xd0
	v_mul_lo_u16_sdwa v1, v1, s2 dst_sel:DWORD dst_unused:UNUSED_PAD src0_sel:WORD_1 src1_sel:DWORD
	v_sub_u16_e32 v73, v0, v1
	s_movk_i32 s2, 0x4f
	v_cmp_lt_u16_e64 s[6:7], s2, v73
	s_movk_i32 s2, 0x50
	v_cmp_gt_u16_e32 vcc, s2, v73
	v_lshlrev_b32_e32 v70, 3, v73
	s_and_saveexec_b64 s[4:5], vcc
	s_cbranch_execz .LBB0_3
; %bb.2:
	s_load_dwordx2 s[2:3], s[0:1], 0x18
	v_mov_b32_e32 v0, s14
	v_mov_b32_e32 v1, s15
	;; [unrolled: 1-line block ×4, first 2 shown]
	s_waitcnt lgkmcnt(0)
	s_load_dwordx4 s[8:11], s[2:3], 0x0
	v_or_b32_e32 v42, 0x280, v73
	s_waitcnt lgkmcnt(0)
	v_mad_u64_u32 v[2:3], s[2:3], s10, v72, 0
	v_mad_u64_u32 v[4:5], s[2:3], s8, v73, 0
	v_mov_b32_e32 v6, v3
	v_mov_b32_e32 v8, v5
	v_mad_u64_u32 v[6:7], s[2:3], s11, v72, v[6:7]
	v_mov_b32_e32 v3, v6
	v_mad_u64_u32 v[6:7], s[2:3], s9, v73, v[8:9]
	v_mov_b32_e32 v5, v6
	v_lshl_add_u64 v[0:1], v[2:3], 3, v[0:1]
	v_lshl_add_u64 v[2:3], v[4:5], 3, v[0:1]
	global_load_dwordx2 v[4:5], v[2:3], off
	v_mad_u64_u32 v[2:3], s[2:3], s8, v52, v[2:3]
	s_mul_i32 s10, s9, 0x280
	v_add_u32_e32 v3, s10, v3
	v_mad_u64_u32 v[8:9], s[2:3], s8, v52, v[2:3]
	v_add_u32_e32 v9, s10, v9
	v_mad_u64_u32 v[16:17], s[2:3], s8, v52, v[8:9]
	;; [unrolled: 2-line block ×3, first 2 shown]
	v_add_u32_e32 v19, s10, v19
	global_load_dwordx2 v[10:11], v70, s[12:13]
	global_load_dwordx2 v[12:13], v70, s[12:13] offset:640
	global_load_dwordx2 v[14:15], v70, s[12:13] offset:1280
	global_load_dwordx2 v[20:21], v[2:3], off
	global_load_dwordx2 v[22:23], v[8:9], off
	;; [unrolled: 1-line block ×4, first 2 shown]
	v_mad_u64_u32 v[2:3], s[2:3], s8, v52, v[18:19]
	v_add_u32_e32 v3, s10, v3
	global_load_dwordx2 v[8:9], v[2:3], off
	v_mad_u64_u32 v[2:3], s[2:3], s8, v52, v[2:3]
	v_add_u32_e32 v3, s10, v3
	global_load_dwordx2 v[16:17], v[2:3], off
	global_load_dwordx2 v[18:19], v70, s[12:13] offset:1920
	global_load_dwordx2 v[28:29], v70, s[12:13] offset:2560
	;; [unrolled: 1-line block ×4, first 2 shown]
	v_mad_u64_u32 v[2:3], s[2:3], s8, v52, v[2:3]
	v_lshl_add_u64 v[6:7], s[12:13], 0, v[70:71]
	s_movk_i32 s2, 0x1000
	v_add_co_u32_e64 v6, s[2:3], s2, v6
	v_add_u32_e32 v3, s10, v3
	s_nop 0
	v_addc_co_u32_e64 v7, s[2:3], 0, v7, s[2:3]
	v_mad_u64_u32 v[38:39], s[2:3], s8, v42, 0
	v_mov_b32_e32 v40, v39
	v_mad_u64_u32 v[40:41], s[2:3], s9, v42, v[40:41]
	v_mov_b32_e32 v39, v40
	v_mov_b32_e32 v40, 0x500
	global_load_dwordx2 v[34:35], v[2:3], off
	v_mad_u64_u32 v[2:3], s[2:3], s8, v40, v[2:3]
	global_load_dwordx2 v[36:37], v[6:7], off offset:384
	s_mul_i32 s2, s9, 0x500
	v_lshl_add_u64 v[0:1], v[38:39], 3, v[0:1]
	v_lshlrev_b32_e32 v38, 3, v42
	v_add_u32_e32 v3, s2, v3
	global_load_dwordx2 v[0:1], v[0:1], off
	s_nop 0
	global_load_dwordx2 v[38:39], v38, s[12:13]
	s_nop 0
	global_load_dwordx2 v[40:41], v[2:3], off
	global_load_dwordx2 v[42:43], v[6:7], off offset:1664
	v_mad_u64_u32 v[2:3], s[2:3], s8, v52, v[2:3]
	v_add_u32_e32 v3, s10, v3
	global_load_dwordx2 v[44:45], v[2:3], off
	global_load_dwordx2 v[46:47], v[6:7], off offset:2304
	v_mad_u64_u32 v[2:3], s[2:3], s8, v52, v[2:3]
	v_add_u32_e32 v3, s10, v3
	;; [unrolled: 4-line block ×3, first 2 shown]
	global_load_dwordx2 v[52:53], v[2:3], off
	global_load_dwordx2 v[54:55], v[6:7], off offset:3584
	v_add_u32_e32 v6, 0x800, v70
	s_waitcnt vmcnt(24)
	v_mul_f32_e32 v2, v5, v11
	v_mul_f32_e32 v3, v4, v11
	v_fmac_f32_e32 v2, v4, v10
	v_fma_f32 v3, v5, v10, -v3
	s_waitcnt vmcnt(21)
	v_mul_f32_e32 v4, v21, v13
	v_mul_f32_e32 v5, v20, v13
	v_fmac_f32_e32 v4, v20, v12
	v_fma_f32 v5, v21, v12, -v5
	ds_write2_b64 v70, v[2:3], v[4:5] offset1:80
	s_waitcnt vmcnt(20)
	v_mul_f32_e32 v2, v23, v15
	v_mul_f32_e32 v3, v22, v15
	s_waitcnt vmcnt(15)
	v_mul_f32_e32 v4, v25, v19
	v_mul_f32_e32 v5, v24, v19
	v_fmac_f32_e32 v2, v22, v14
	v_fma_f32 v3, v23, v14, -v3
	v_fmac_f32_e32 v4, v24, v18
	v_fma_f32 v5, v25, v18, -v5
	ds_write2_b64 v70, v[2:3], v[4:5] offset0:160 offset1:240
	s_waitcnt vmcnt(14)
	v_mul_f32_e32 v2, v27, v29
	v_mul_f32_e32 v3, v26, v29
	s_waitcnt vmcnt(13)
	v_mul_f32_e32 v4, v9, v31
	v_mul_f32_e32 v5, v8, v31
	v_fmac_f32_e32 v2, v26, v28
	v_fma_f32 v3, v27, v28, -v3
	v_fmac_f32_e32 v4, v8, v30
	v_fma_f32 v5, v9, v30, -v5
	ds_write2_b64 v6, v[2:3], v[4:5] offset0:64 offset1:144
	s_waitcnt vmcnt(12)
	v_mul_f32_e32 v2, v17, v33
	v_mul_f32_e32 v3, v16, v33
	v_fmac_f32_e32 v2, v16, v32
	v_fma_f32 v3, v17, v32, -v3
	s_waitcnt vmcnt(10)
	v_mul_f32_e32 v4, v35, v37
	v_mul_f32_e32 v5, v34, v37
	v_fmac_f32_e32 v4, v34, v36
	v_fma_f32 v5, v35, v36, -v5
	v_add_u32_e32 v6, 0xc00, v70
	ds_write2_b64 v6, v[2:3], v[4:5] offset0:96 offset1:176
	v_add_u32_e32 v4, 0x1000, v70
	s_waitcnt vmcnt(8)
	v_mul_f32_e32 v2, v1, v39
	v_fmac_f32_e32 v2, v0, v38
	v_mul_f32_e32 v0, v0, v39
	v_fma_f32 v3, v1, v38, -v0
	s_waitcnt vmcnt(6)
	v_mul_f32_e32 v0, v41, v43
	v_mul_f32_e32 v1, v40, v43
	v_fmac_f32_e32 v0, v40, v42
	v_fma_f32 v1, v41, v42, -v1
	ds_write2_b64 v4, v[2:3], v[0:1] offset0:128 offset1:208
	s_waitcnt vmcnt(4)
	v_mul_f32_e32 v0, v45, v47
	v_mul_f32_e32 v1, v44, v47
	s_waitcnt vmcnt(2)
	v_mul_f32_e32 v2, v49, v51
	v_mul_f32_e32 v3, v48, v51
	v_fmac_f32_e32 v0, v44, v46
	v_fma_f32 v1, v45, v46, -v1
	v_fmac_f32_e32 v2, v48, v50
	v_fma_f32 v3, v49, v50, -v3
	v_add_u32_e32 v4, 0x1800, v70
	ds_write2_b64 v4, v[0:1], v[2:3] offset0:32 offset1:112
	s_waitcnt vmcnt(0)
	v_mul_f32_e32 v0, v53, v55
	v_mul_f32_e32 v1, v52, v55
	v_fmac_f32_e32 v0, v52, v54
	v_fma_f32 v1, v53, v54, -v1
	ds_write_b64 v70, v[0:1] offset:7680
.LBB0_3:
	s_or_b64 exec, exec, s[4:5]
	v_mov_b64_e32 v[0:1], 0
	s_waitcnt lgkmcnt(0)
	s_barrier
	s_waitcnt lgkmcnt(0)
                                        ; implicit-def: $vgpr4
                                        ; implicit-def: $vgpr14
                                        ; implicit-def: $vgpr8
                                        ; implicit-def: $vgpr22
                                        ; implicit-def: $vgpr16
                                        ; implicit-def: $vgpr32
	s_and_saveexec_b64 s[2:3], vcc
	s_cbranch_execz .LBB0_5
; %bb.4:
	v_add_u32_e32 v4, 0x800, v70
	ds_read2_b64 v[0:3], v70 offset1:80
	ds_read2_b64 v[20:23], v70 offset0:160 offset1:240
	ds_read2_b64 v[12:15], v4 offset0:64 offset1:144
	v_add_u32_e32 v4, 0xc00, v70
	v_add_u32_e32 v8, 0x1000, v70
	;; [unrolled: 1-line block ×3, first 2 shown]
	ds_read2_b64 v[4:7], v4 offset0:96 offset1:176
	ds_read2_b64 v[8:11], v8 offset0:128 offset1:208
	;; [unrolled: 1-line block ×3, first 2 shown]
	ds_read_b64 v[32:33], v70 offset:7680
.LBB0_5:
	s_or_b64 exec, exec, s[2:3]
	s_waitcnt lgkmcnt(1)
	v_mov_b32_e32 v24, v16
	v_mov_b32_e32 v25, v18
	;; [unrolled: 1-line block ×4, first 2 shown]
	v_pk_add_f32 v[28:29], v[2:3], v[0:1]
	v_pk_add_f32 v[66:67], v[20:21], v[18:19] neg_lo:[0,1] neg_hi:[0,1]
	v_pk_add_f32 v[64:65], v[20:21], v[18:19]
	v_pk_add_f32 v[78:79], v[24:25], v[26:27]
	v_mov_b32_e32 v25, v21
	v_pk_add_f32 v[20:21], v[20:21], v[28:29]
	v_pk_add_f32 v[82:83], v[12:13], v[10:11] neg_lo:[0,1] neg_hi:[0,1]
	v_pk_add_f32 v[38:39], v[22:23], v[20:21]
	v_pk_add_f32 v[86:87], v[12:13], v[10:11]
	s_mov_b32 s22, 0xbf3f9e67
	s_mov_b32 s4, 0x3f116cb1
	v_pk_add_f32 v[12:13], v[12:13], v[38:39]
	v_mov_b32_e32 v24, v23
	v_mov_b32_e32 v26, v17
	;; [unrolled: 1-line block ×3, first 2 shown]
	v_pk_add_f32 v[110:111], v[4:5], v[6:7]
	s_mov_b32 s23, 0xbf29c268
	s_mov_b32 s5, 0xbf52af12
	v_pk_add_f32 v[12:13], v[14:15], v[12:13]
	v_pk_add_f32 v[88:89], v[24:25], v[26:27] neg_lo:[0,1] neg_hi:[0,1]
	v_pk_add_f32 v[98:99], v[4:5], v[6:7] neg_lo:[0,1] neg_hi:[0,1]
	v_pk_mul_f32 v[20:21], v[110:111], s[22:23]
	s_mov_b32 s42, 0x3f29c268
	s_mov_b32 s43, s5
	v_pk_add_f32 v[4:5], v[4:5], v[12:13]
	v_mov_b32_e32 v54, v66
	v_mov_b32_e32 v55, v65
	s_mov_b32 s2, 0x3f62ad3f
	v_mov_b32_e32 v36, v110
	v_mov_b32_e32 v37, v99
	;; [unrolled: 1-line block ×3, first 2 shown]
	v_pk_mul_f32 v[68:69], v[88:89], s[42:43] op_sel:[1,0]
	v_pk_add_f32 v[4:5], v[6:7], v[4:5]
	s_mov_b32 s43, s4
	v_pk_add_f32 v[30:31], v[22:23], v[16:17] neg_lo:[0,1] neg_hi:[0,1]
	v_pk_add_f32 v[76:77], v[22:23], v[16:17]
	s_mov_b32 s3, 0x3eedf032
	v_pk_add_f32 v[24:25], v[14:15], v[8:9] neg_lo:[0,1] neg_hi:[0,1]
	v_pk_fma_f32 v[28:29], v[36:37], s[22:23], v[20:21] neg_lo:[1,0,0] neg_hi:[1,0,0]
	v_pk_fma_f32 v[22:23], v[36:37], s[22:23], v[20:21]
	v_pk_add_f32 v[20:21], v[14:15], v[8:9]
	v_mov_b32_e32 v14, v65
	v_mov_b32_e32 v15, v66
	s_mov_b32 s10, s22
	s_mov_b32 s11, s5
	v_pk_mul_f32 v[12:13], v[54:55], s[42:43]
	v_pk_add_f32 v[4:5], v[8:9], v[4:5]
	s_mov_b32 s20, 0xbe750f2a
	v_pk_add_f32 v[4:5], v[10:11], v[4:5]
	v_pk_fma_f32 v[38:39], v[14:15], s[10:11], v[12:13]
	v_pk_fma_f32 v[8:9], v[14:15], s[10:11], v[12:13] neg_lo:[1,0,0] neg_hi:[1,0,0]
	s_mov_b32 s39, 0xbf7e222b
	s_mov_b32 s38, s3
	;; [unrolled: 1-line block ×6, first 2 shown]
	v_mov_b32_e32 v39, v9
	v_pk_mul_f32 v[84:85], v[88:89], s[38:39] op_sel_hi:[0,1]
	v_pk_add_f32 v[4:5], v[16:17], v[4:5]
	v_mov_b32_e32 v8, v77
	v_mov_b32_e32 v9, v30
	s_mov_b32 s38, s2
	v_pk_mul_f32 v[26:27], v[88:89], s[8:9]
	s_mov_b32 s9, s18
	v_pk_mul_f32 v[6:7], v[14:15], s[10:11]
	v_pk_add_f32 v[104:105], v[18:19], v[4:5]
	v_pk_mul_f32 v[4:5], v[8:9], s[38:39]
	v_mov_b32_e32 v34, v30
	v_mov_b32_e32 v6, v5
	v_pk_mul_f32 v[4:5], v[30:31], s[8:9]
	v_mov_b32_e32 v35, v77
	v_mov_b32_e32 v5, v4
	s_mov_b32 s41, 0x3df6dbef
	v_pk_fma_f32 v[36:37], v[34:35], s[8:9], v[4:5]
	v_pk_fma_f32 v[52:53], v[34:35], s[8:9], v[4:5] neg_lo:[0,0,1] neg_hi:[0,0,1]
	s_mov_b32 s8, s3
	s_mov_b32 s9, s41
	v_pk_mul_f32 v[10:11], v[34:35], s[8:9]
	v_pk_fma_f32 v[4:5], v[14:15], s[10:11], v[12:13] neg_lo:[0,0,1] neg_hi:[0,0,1]
	v_mov_b32_e32 v12, v11
	v_pk_add_f32 v[46:47], v[6:7], v[12:13]
	v_pk_fma_f32 v[44:45], v[8:9], s[38:39], v[10:11]
	v_pk_fma_f32 v[6:7], v[8:9], s[38:39], v[10:11] neg_lo:[1,0,0] neg_hi:[1,0,0]
	v_mov_b32_e32 v58, v82
	v_mov_b32_e32 v59, v87
	s_mov_b32 s9, 0xbf6f5d39
	s_mov_b32 s8, s39
	;; [unrolled: 1-line block ×4, first 2 shown]
	v_mov_b32_e32 v45, v7
	v_pk_fma_f32 v[6:7], v[8:9], s[38:39], v[10:11] neg_lo:[0,0,1] neg_hi:[0,0,1]
	v_mov_b32_e32 v8, v87
	v_mov_b32_e32 v9, v82
	v_pk_mul_f32 v[102:103], v[82:83], s[8:9] op_sel:[1,0]
	s_mov_b32 s8, s41
	v_pk_mul_f32 v[10:11], v[58:59], s[10:11]
	s_mov_b32 s26, 0x3e750f2a
	s_mov_b32 s27, s23
	v_pk_fma_f32 v[40:41], v[8:9], s[8:9], v[10:11]
	v_pk_fma_f32 v[50:51], v[8:9], s[8:9], v[10:11] neg_lo:[1,0,0] neg_hi:[1,0,0]
	v_pk_fma_f32 v[12:13], v[8:9], s[8:9], v[10:11] neg_lo:[0,0,1] neg_hi:[0,0,1]
	v_mov_b32_e32 v48, v24
	v_mov_b32_e32 v49, v21
	v_pk_mul_f32 v[8:9], v[24:25], s[26:27] op_sel:[1,0]
	s_mov_b32 s27, s22
	v_mov_b32_e32 v18, v21
	v_mov_b32_e32 v19, v24
	s_mov_b32 s10, s21
	s_mov_b32 s11, s23
	v_pk_mul_f32 v[34:35], v[48:49], s[26:27]
	s_mov_b32 s24, s23
	v_pk_fma_f32 v[42:43], v[18:19], s[10:11], v[34:35]
	v_pk_fma_f32 v[10:11], v[18:19], s[10:11], v[34:35] neg_lo:[1,0,0] neg_hi:[1,0,0]
	s_mov_b32 s25, s22
	v_mov_b32_e32 v43, v11
	v_pk_mul_f32 v[10:11], v[98:99], s[24:25]
	s_mov_b32 s44, 0x3f52af12
	s_mov_b32 s45, s20
	v_mov_b32_e32 v14, v98
	v_mov_b32_e32 v15, v111
	;; [unrolled: 1-line block ×3, first 2 shown]
	v_pk_mul_f32 v[106:107], v[98:99], s[44:45] op_sel:[1,0]
	s_mov_b32 s45, s21
	v_pk_fma_f32 v[10:11], v[14:15], s[24:25], v[4:5]
	v_pk_fma_f32 v[90:91], v[14:15], s[24:25], v[4:5] neg_lo:[0,0,1] neg_hi:[0,0,1]
	v_mov_b32_e32 v56, v111
	v_mov_b32_e32 v57, v98
	s_mov_b32 s14, s4
	s_mov_b32 s15, s20
	v_pk_mul_f32 v[14:15], v[14:15], s[44:45]
	s_mov_b32 s28, s41
	v_pk_fma_f32 v[60:61], v[56:57], s[14:15], v[14:15]
	v_pk_fma_f32 v[16:17], v[56:57], s[14:15], v[14:15] neg_lo:[1,0,0] neg_hi:[1,0,0]
	v_pk_fma_f32 v[14:15], v[56:57], s[14:15], v[14:15] neg_lo:[0,0,1] neg_hi:[0,0,1]
	s_mov_b32 s14, 0x3f7e222b
	v_mov_b32_e32 v56, v79
	v_mov_b32_e32 v57, v66
	s_mov_b32 s29, s14
	v_mov_b32_e32 v150, v89
	v_mov_b32_e32 v151, v65
	s_mov_b32 s15, s41
	v_pk_mul_f32 v[152:153], v[56:57], s[28:29]
	s_mov_b32 s27, s21
	v_pk_fma_f32 v[100:101], v[150:151], s[14:15], v[152:153] neg_lo:[1,0,0] neg_hi:[1,0,0]
	v_pk_fma_f32 v[56:57], v[150:151], s[14:15], v[152:153]
	v_mov_b32_e32 v118, v86
	v_mov_b32_e32 v101, v57
	;; [unrolled: 1-line block ×4, first 2 shown]
	v_pk_mul_f32 v[92:93], v[56:57], s[26:27]
	v_mov_b32_e32 v119, v82
	s_mov_b32 s36, s21
	s_mov_b32 s37, s26
	;; [unrolled: 1-line block ×4, first 2 shown]
	v_mov_b32_e32 v16, v60
	v_mov_b32_e32 v28, v61
	v_pk_fma_f32 v[122:123], v[118:119], s[36:37], v[92:93] neg_lo:[0,0,1] neg_hi:[0,0,1]
	v_pk_fma_f32 v[56:57], v[118:119], s[36:37], v[92:93]
	v_mov_b32_e32 v60, v20
	v_mov_b32_e32 v61, v24
	v_pk_mul_f32 v[80:81], v[48:49], s[26:27]
	v_mov_b32_e32 v123, v57
	s_mov_b32 s34, s3
	s_mov_b32 s35, s2
	v_mov_b32_e32 v56, v25
	v_mov_b32_e32 v57, v21
	v_pk_mul_f32 v[60:61], v[60:61], s[2:3]
	v_mov_b32_e32 v5, v80
	v_pk_fma_f32 v[96:97], v[56:57], s[34:35], v[60:61] neg_lo:[1,0,0] neg_hi:[1,0,0]
	v_pk_fma_f32 v[94:95], v[56:57], s[34:35], v[60:61]
	v_pk_fma_f32 v[56:57], v[56:57], s[34:35], v[60:61] neg_lo:[0,0,1] neg_hi:[0,0,1]
	v_pk_fma_f32 v[60:61], v[48:49], s[26:27], v[4:5] neg_lo:[0,0,1] neg_hi:[0,0,1]
	v_mov_b32_e32 v97, v95
	v_mov_b32_e32 v95, v61
	;; [unrolled: 1-line block ×4, first 2 shown]
	v_pk_mul_f32 v[74:75], v[60:61], s[4:5]
	s_mov_b32 s19, s21
	v_mov_b32_e32 v5, v74
	v_pk_fma_f32 v[116:117], v[60:61], s[4:5], v[4:5]
	v_mov_b32_e32 v56, v110
	v_mov_b32_e32 v116, v57
	;; [unrolled: 1-line block ×3, first 2 shown]
	v_pk_mul_f32 v[134:135], v[78:79], s[18:19]
	v_pk_fma_f32 v[138:139], v[78:79], s[18:19], v[26:27] neg_lo:[0,0,1] neg_hi:[0,0,1]
	v_pk_fma_f32 v[132:133], v[78:79], s[18:19], v[26:27]
	s_mov_b32 s19, s9
	v_mov_b32_e32 v108, v99
	v_mov_b32_e32 v109, v111
	s_mov_b32 s28, s9
	s_mov_b32 s29, s18
	v_pk_mul_f32 v[112:113], v[56:57], s[18:19]
	s_mov_b32 s19, s2
	v_pk_fma_f32 v[62:63], v[108:109], s[28:29], v[112:113] neg_lo:[1,0,0] neg_hi:[1,0,0]
	v_pk_fma_f32 v[56:57], v[108:109], s[28:29], v[112:113]
	s_mov_b32 s40, s2
	v_mov_b32_e32 v63, v57
	v_mov_b32_e32 v57, v91
	v_pk_fma_f32 v[90:91], v[108:109], s[28:29], v[112:113] neg_lo:[0,0,1] neg_hi:[0,0,1]
	s_mov_b32 s29, s3
	v_mov_b32_e32 v22, v91
	v_pk_mul_f32 v[90:91], v[64:65], s[18:19] op_sel:[1,0]
	v_mov_b32_e32 v108, v78
	v_mov_b32_e32 v109, v30
	v_pk_fma_f32 v[64:65], v[66:67], s[28:29], v[90:91] op_sel_hi:[0,1,1] neg_lo:[1,0,0] neg_hi:[1,0,0]
	v_pk_fma_f32 v[90:91], v[66:67], s[28:29], v[90:91] op_sel_hi:[0,1,1]
	v_pk_fma_f32 v[128:129], v[78:79], s[40:41], v[84:85] op_sel_hi:[0,1,1] neg_lo:[0,0,1] neg_hi:[0,0,1]
	v_pk_fma_f32 v[66:67], v[78:79], s[40:41], v[84:85] op_sel_hi:[0,1,1]
	v_mov_b32_e32 v84, v88
	v_mov_b32_e32 v85, v77
	v_pk_mul_f32 v[108:109], v[108:109], s[4:5]
	s_mov_b32 s46, s22
	v_pk_fma_f32 v[146:147], v[84:85], s[26:27], v[108:109]
	v_pk_fma_f32 v[142:143], v[84:85], s[26:27], v[108:109] neg_lo:[0,0,1] neg_hi:[0,0,1]
	v_pk_fma_f32 v[148:149], v[88:89], s[26:27], v[108:109] neg_lo:[1,0,0] neg_hi:[1,0,0]
	v_pk_mul_f32 v[108:109], v[88:89], s[28:29] op_sel:[1,0]
	s_mov_b32 s28, s20
	s_mov_b32 s29, s23
	;; [unrolled: 1-line block ×5, first 2 shown]
	v_pk_fma_f32 v[84:85], v[78:79], s[18:19], v[108:109] op_sel:[1,0,0]
	v_pk_fma_f32 v[112:113], v[78:79], s[18:19], v[108:109] op_sel:[1,0,0] neg_lo:[0,0,1] neg_hi:[0,0,1]
	v_pk_mul_f32 v[108:109], v[88:89], s[28:29] op_sel_hi:[0,1]
	v_pk_fma_f32 v[124:125], v[78:79], s[46:47], v[68:69] op_sel:[1,0,0] neg_lo:[0,0,1] neg_hi:[0,0,1]
	v_pk_fma_f32 v[68:69], v[78:79], s[46:47], v[68:69] op_sel:[1,0,0]
	v_pk_fma_f32 v[88:89], v[78:79], s[30:31], v[108:109] op_sel_hi:[0,1,1]
	v_pk_fma_f32 v[114:115], v[78:79], s[30:31], v[108:109] op_sel_hi:[0,1,1] neg_lo:[0,0,1] neg_hi:[0,0,1]
	v_pk_mul_f32 v[78:79], v[76:77], s[30:31] op_sel:[1,0]
	s_mov_b32 s43, s44
	v_pk_fma_f32 v[76:77], v[30:31], s[28:29], v[78:79] op_sel_hi:[0,1,1] neg_lo:[1,0,0] neg_hi:[1,0,0]
	v_pk_fma_f32 v[120:121], v[30:31], s[28:29], v[78:79] op_sel_hi:[0,1,1]
	s_mov_b32 s28, s41
	s_mov_b32 s29, s18
	v_pk_mul_f32 v[30:31], v[82:83], s[42:43] op_sel:[1,0]
	v_pk_fma_f32 v[136:137], v[86:87], s[28:29], v[102:103] op_sel_hi:[0,1,1] neg_lo:[0,0,1] neg_hi:[0,0,1]
	v_pk_fma_f32 v[78:79], v[86:87], s[28:29], v[102:103] op_sel_hi:[0,1,1]
	v_pk_fma_f32 v[102:103], v[86:87], s[46:47], v[30:31] op_sel_hi:[0,1,1]
	v_pk_fma_f32 v[126:127], v[86:87], s[46:47], v[30:31] op_sel_hi:[0,1,1] neg_lo:[0,0,1] neg_hi:[0,0,1]
	v_pk_mul_f32 v[30:31], v[86:87], s[46:47] op_sel:[1,0]
	v_mov_b32_e32 v144, v86
	v_pk_fma_f32 v[86:87], v[82:83], s[42:43], v[30:31] op_sel_hi:[0,1,1] neg_lo:[1,0,0] neg_hi:[1,0,0]
	v_pk_fma_f32 v[130:131], v[82:83], s[42:43], v[30:31] op_sel_hi:[0,1,1]
	s_mov_b32 s42, s3
	s_mov_b32 s43, s14
	v_mov_b32_e32 v145, v83
	v_pk_mul_f32 v[82:83], v[98:99], s[42:43] op_sel:[1,0]
	s_mov_b32 s44, s4
	v_pk_fma_f32 v[30:31], v[110:111], s[40:41], v[82:83] op_sel_hi:[0,1,1]
	v_pk_mul_f32 v[98:99], v[98:99], s[42:43] op_sel_hi:[0,1]
	s_waitcnt lgkmcnt(0)
	v_pk_add_f32 v[154:155], v[32:33], v[2:3]
	v_pk_add_f32 v[156:157], v[2:3], v[32:33] neg_lo:[0,1] neg_hi:[0,1]
	v_mov_b32_e32 v15, v30
	v_pk_fma_f32 v[140:141], v[110:111], s[44:45], v[106:107] op_sel_hi:[0,1,1] neg_lo:[0,0,1] neg_hi:[0,0,1]
	v_pk_fma_f32 v[106:107], v[110:111], s[44:45], v[106:107] op_sel_hi:[0,1,1]
	v_pk_add_f32 v[30:31], v[32:33], v[104:105]
	v_pk_fma_f32 v[104:105], v[110:111], s[40:41], v[98:99] op_sel:[1,0,0]
	v_pk_fma_f32 v[98:99], v[110:111], s[40:41], v[98:99] op_sel:[1,0,0] neg_lo:[0,0,1] neg_hi:[0,0,1]
	v_pk_mul_f32 v[108:109], v[110:111], s[40:41] op_sel_hi:[0,1]
	v_pk_fma_f32 v[110:111], v[110:111], s[40:41], v[82:83] op_sel_hi:[0,1,1] neg_lo:[0,0,1] neg_hi:[0,0,1]
	v_mov_b32_e32 v2, v156
	v_mov_b32_e32 v3, v155
	s_mov_b32 s40, s39
	v_pk_mul_f32 v[32:33], v[2:3], s[40:41]
	s_mov_b32 s38, s41
	v_mov_b32_e32 v10, v33
	v_pk_fma_f32 v[158:159], v[2:3], s[40:41], v[10:11]
	v_mov_b32_e32 v2, v154
	v_mov_b32_e32 v3, v157
	v_pk_mul_f32 v[160:161], v[2:3], s[4:5]
	v_pk_mul_f32 v[164:165], v[156:157], s[38:39]
	v_mov_b32_e32 v10, v161
	v_pk_fma_f32 v[162:163], v[2:3], s[4:5], v[10:11]
	v_mov_b32_e32 v10, v165
	v_pk_fma_f32 v[164:165], v[2:3], s[38:39], v[10:11] neg_lo:[0,0,1] neg_hi:[0,0,1]
	v_pk_fma_f32 v[166:167], v[2:3], s[38:39], v[10:11]
	v_pk_mul_f32 v[2:3], v[54:55], s[20:21]
	v_mov_b32_e32 v55, v33
	v_mov_b32_e32 v54, v3
	;; [unrolled: 1-line block ×4, first 2 shown]
	s_mov_b32 s38, s21
	v_pk_mul_f32 v[168:169], v[156:157], s[20:21] op_sel_hi:[1,0]
	v_pk_add_f32 v[54:55], v[54:55], v[32:33] neg_lo:[0,1] neg_hi:[0,1]
	v_pk_fma_f32 v[170:171], v[154:155], s[38:39], v[168:169] op_sel:[0,0,1] op_sel_hi:[1,0,0]
	v_pk_fma_f32 v[32:33], v[154:155], s[38:39], v[168:169] op_sel:[0,0,1] op_sel_hi:[1,0,0] neg_lo:[0,0,1] neg_hi:[0,0,1]
	s_mov_b32 s21, 0xbeedf032
	v_mov_b32_e32 v171, v33
	v_mov_b32_e32 v32, v155
	;; [unrolled: 1-line block ×3, first 2 shown]
	v_pk_mul_f32 v[172:173], v[32:33], s[4:5]
	s_mov_b32 s20, s9
	s_mov_b32 s8, s2
	v_mov_b32_e32 v5, v172
	v_pk_mul_f32 v[176:177], v[156:157], s[20:21] op_sel:[1,0]
	s_mov_b32 s20, s18
	v_pk_mul_f32 v[178:179], v[32:33], s[8:9]
	v_pk_fma_f32 v[174:175], v[32:33], s[4:5], v[4:5] neg_lo:[1,0,0] neg_hi:[1,0,0]
	v_pk_fma_f32 v[180:181], v[32:33], s[20:21], v[178:179] op_sel:[0,0,1] op_sel_hi:[1,1,0]
	v_pk_fma_f32 v[182:183], v[32:33], s[20:21], v[178:179] op_sel:[0,0,1] op_sel_hi:[1,1,0] neg_lo:[1,0,0] neg_hi:[1,0,0]
	v_pk_fma_f32 v[178:179], v[32:33], s[20:21], v[178:179] op_sel:[0,0,1] op_sel_hi:[1,1,0] neg_lo:[0,0,1] neg_hi:[0,0,1]
	v_pk_fma_f32 v[32:33], v[154:155], s[18:19], v[176:177] op_sel_hi:[0,1,1] neg_lo:[0,0,1] neg_hi:[0,0,1]
	v_pk_fma_f32 v[176:177], v[154:155], s[18:19], v[176:177] op_sel_hi:[0,1,1]
	v_mov_b32_e32 v185, v155
	v_pk_mul_f32 v[186:187], v[154:155], s[38:39] op_sel_hi:[1,0]
	v_mov_b32_e32 v155, v156
	v_mov_b32_e32 v184, v157
	v_pk_mul_f32 v[154:155], v[154:155], s[22:23]
	v_pk_mul_f32 v[190:191], v[184:185], s[24:25]
	v_pk_fma_f32 v[156:157], v[184:185], s[24:25], v[154:155] neg_lo:[1,0,0] neg_hi:[1,0,0]
	v_pk_fma_f32 v[188:189], v[184:185], s[24:25], v[154:155]
	v_mov_b32_e32 v163, v178
	v_mov_b32_e32 v157, v189
	v_pk_mul_f32 v[188:189], v[150:151], s[14:15]
	v_pk_fma_f32 v[150:151], v[150:151], s[14:15], v[152:153] neg_lo:[0,0,1] neg_hi:[0,0,1]
	v_mov_b32_e32 v189, v190
	v_mov_b32_e32 v153, v154
	v_pk_add_f32 v[152:153], v[152:153], v[188:189]
	v_mov_b32_e32 v188, v160
	v_mov_b32_e32 v189, v186
	;; [unrolled: 1-line block ×7, first 2 shown]
	v_pk_add_f32 v[160:161], v[188:189], v[160:161] neg_lo:[0,1] neg_hi:[0,1]
	v_pk_add_f32 v[168:169], v[168:169], v[172:173]
	v_mov_b32_e32 v173, v177
	v_mov_b32_e32 v177, v175
	;; [unrolled: 1-line block ×5, first 2 shown]
	v_pk_add_f32 v[156:157], v[156:157], v[0:1]
	v_mov_b32_e32 v10, v153
	v_pk_add_f32 v[164:165], v[164:165], v[0:1]
	v_pk_add_f32 v[158:159], v[4:5], v[0:1]
	;; [unrolled: 1-line block ×5, first 2 shown]
	v_mov_b32_e32 v26, v1
	v_pk_add_f32 v[178:179], v[180:181], v[0:1]
	v_pk_add_f32 v[172:173], v[172:173], v[0:1] op_sel_hi:[1,0]
	v_pk_add_f32 v[180:181], v[182:183], v[0:1] op_sel:[0,1]
	v_mov_b32_e32 v81, v2
	v_mov_b32_e32 v2, v0
	v_pk_add_f32 v[160:161], v[160:161], v[0:1] op_sel_hi:[1,0]
	v_pk_add_f32 v[168:169], v[168:169], v[0:1] op_sel:[0,1]
	v_pk_add_f32 v[162:163], v[162:163], v[0:1]
	v_pk_add_f32 v[176:177], v[176:177], v[0:1]
	;; [unrolled: 1-line block ×3, first 2 shown]
	v_mov_b32_e32 v5, v54
	v_pk_add_f32 v[54:55], v[100:101], v[156:157]
	v_mov_b32_e32 v149, v147
	v_pk_add_f32 v[0:1], v[4:5], v[0:1]
	v_pk_add_f32 v[54:55], v[148:149], v[54:55]
	v_pk_mul_f32 v[118:119], v[118:119], s[36:37]
	v_pk_add_f32 v[100:101], v[152:153], v[174:175]
	v_pk_add_f32 v[54:55], v[122:123], v[54:55]
	v_mov_b32_e32 v52, v118
	v_mov_b32_e32 v0, v92
	v_pk_mul_f32 v[122:123], v[58:59], s[34:35]
	v_pk_add_f32 v[0:1], v[52:53], v[0:1]
	v_pk_add_f32 v[52:53], v[146:147], v[100:101]
	v_mov_b32_e32 v101, v122
	v_mov_b32_e32 v5, v122
	v_pk_fma_f32 v[122:123], v[58:59], s[34:35], v[4:5]
	v_pk_fma_f32 v[58:59], v[58:59], s[34:35], v[100:101] neg_lo:[0,0,1] neg_hi:[0,0,1]
	v_mov_b32_e32 v10, v139
	v_mov_b32_e32 v32, v93
	;; [unrolled: 1-line block ×3, first 2 shown]
	v_pk_mul_f32 v[92:93], v[144:145], s[2:3]
	v_pk_fma_f32 v[154:155], v[184:185], s[24:25], v[154:155] neg_lo:[0,0,1] neg_hi:[0,0,1]
	v_pk_add_f32 v[164:165], v[10:11], v[164:165]
	v_mov_b32_e32 v53, v59
	v_mov_b32_e32 v10, v119
	;; [unrolled: 1-line block ×3, first 2 shown]
	v_pk_add_f32 v[0:1], v[0:1], v[52:53]
	v_pk_add_f32 v[52:53], v[32:33], v[10:11] neg_lo:[0,1] neg_hi:[0,1]
	v_pk_fma_f32 v[58:59], v[144:145], s[2:3], v[58:59]
	v_mov_b32_e32 v134, v155
	v_mov_b32_e32 v53, v59
	v_pk_add_f32 v[26:27], v[134:135], v[26:27]
	v_mov_b32_e32 v58, v151
	v_mov_b32_e32 v59, v166
	v_pk_add_f32 v[26:27], v[58:59], v[26:27]
	;; [unrolled: 3-line block ×3, first 2 shown]
	v_pk_add_f32 v[38:39], v[38:39], v[180:181]
	v_pk_add_f32 v[26:27], v[52:53], v[26:27]
	;; [unrolled: 1-line block ×3, first 2 shown]
	v_mov_b32_e32 v54, v124
	v_mov_b32_e32 v55, v69
	v_pk_add_f32 v[58:59], v[46:47], v[178:179]
	v_pk_add_f32 v[54:55], v[54:55], v[172:173]
	v_mov_b32_e32 v10, v59
	v_mov_b32_e32 v58, v128
	;; [unrolled: 1-line block ×3, first 2 shown]
	v_pk_add_f32 v[38:39], v[44:45], v[38:39]
	v_mov_b32_e32 v50, v40
	v_pk_add_f32 v[54:55], v[58:59], v[54:55]
	v_mov_b32_e32 v44, v136
	v_mov_b32_e32 v45, v79
	v_pk_add_f32 v[38:39], v[50:51], v[38:39]
	v_mov_b32_e32 v51, v80
	v_mov_b32_e32 v80, v33
	v_pk_add_f32 v[44:45], v[44:45], v[54:55]
	v_pk_mul_f32 v[54:55], v[20:21], s[30:31] op_sel_hi:[0,1]
	v_pk_add_f32 v[2:3], v[80:81], v[2:3]
	v_mov_b32_e32 v158, v125
	v_mov_b32_e32 v5, v92
	v_pk_add_f32 v[46:47], v[46:47], v[10:11]
	v_mov_b32_e32 v10, v55
	v_mov_b32_e32 v32, v9
	v_pk_add_f32 v[2:3], v[158:159], v[2:3]
	v_mov_b32_e32 v36, v129
	v_pk_add_f32 v[138:139], v[138:139], v[164:165]
	v_pk_fma_f32 v[92:93], v[144:145], s[2:3], v[4:5] neg_lo:[1,0,0] neg_hi:[1,0,0]
	v_mov_b32_e32 v50, v55
	v_pk_add_f32 v[54:55], v[10:11], v[32:33] neg_lo:[0,1] neg_hi:[0,1]
	v_pk_add_f32 v[2:3], v[36:37], v[2:3]
	v_pk_mul_f32 v[32:33], v[18:19], s[10:11]
	v_mov_b32_e32 v37, v74
	v_mov_b32_e32 v36, v46
	;; [unrolled: 1-line block ×6, first 2 shown]
	v_pk_add_f32 v[40:41], v[46:47], v[10:11]
	v_pk_fma_f32 v[36:37], v[60:61], s[4:5], v[36:37] neg_lo:[1,0,0] neg_hi:[1,0,0]
	v_pk_add_f32 v[32:33], v[92:93], v[32:33]
	v_mov_b32_e32 v41, v37
	v_pk_add_f32 v[32:33], v[32:33], v[40:41]
	s_mov_b32 s15, s9
	v_pk_add_f32 v[60:61], v[28:29], v[32:33]
	v_mov_b32_e32 v28, v85
	v_mov_b32_e32 v29, v65
	v_pk_add_f32 v[28:29], v[28:29], v[170:171]
	v_mov_b32_e32 v32, v89
	v_mov_b32_e32 v33, v77
	;; [unrolled: 3-line block ×3, first 2 shown]
	v_pk_add_f32 v[28:29], v[32:33], v[28:29]
	v_pk_mul_f32 v[32:33], v[20:21], s[28:29] op_sel_hi:[0,1]
	v_mov_b32_e32 v5, v32
	v_pk_mul_f32 v[32:33], v[24:25], s[14:15] op_sel:[1,0]
	v_mov_b32_e32 v85, v4
	v_mov_b32_e32 v7, v32
	v_pk_fma_f32 v[18:19], v[18:19], s[10:11], v[34:35] neg_lo:[0,0,1] neg_hi:[0,0,1]
	v_pk_add_f32 v[34:35], v[4:5], v[6:7]
	v_pk_add_f32 v[4:5], v[84:85], v[162:163]
	v_mov_b32_e32 v89, v6
	v_pk_add_f32 v[4:5], v[88:89], v[4:5]
	v_mov_b32_e32 v103, v12
	v_mov_b32_e32 v19, v35
	v_pk_add_f32 v[4:5], v[102:103], v[4:5]
	v_pk_mul_f32 v[6:7], v[24:25], s[14:15] op_sel_hi:[0,1]
	v_pk_fma_f32 v[48:49], v[48:49], s[26:27], v[50:51]
	v_pk_fma_f32 v[36:37], v[20:21], s[30:31], v[8:9] op_sel_hi:[0,1,1] neg_lo:[0,0,1] neg_hi:[0,0,1]
	v_pk_fma_f32 v[50:51], v[20:21], s[30:31], v[8:9] op_sel_hi:[0,1,1]
	v_pk_add_f32 v[4:5], v[18:19], v[4:5] op_sel:[0,1] op_sel_hi:[1,0]
	v_pk_fma_f32 v[12:13], v[20:21], s[28:29], v[32:33] op_sel_hi:[0,1,1] neg_lo:[0,0,1] neg_hi:[0,0,1]
	v_pk_fma_f32 v[18:19], v[20:21], s[28:29], v[32:33] op_sel_hi:[0,1,1]
	v_mov_b32_e32 v9, v6
	v_pk_fma_f32 v[24:25], v[20:21], s[28:29], v[6:7] op_sel:[1,0,0]
	v_pk_fma_f32 v[6:7], v[20:21], s[28:29], v[6:7] op_sel:[1,0,0] neg_lo:[0,0,1] neg_hi:[0,0,1]
	v_pk_mul_f32 v[20:21], v[20:21], s[28:29] op_sel:[1,0]
	v_pk_add_f32 v[26:27], v[116:117], v[26:27]
	v_mov_b32_e32 v21, v20
	v_pk_add_f32 v[8:9], v[20:21], v[8:9] neg_lo:[0,1] neg_hi:[0,1]
	v_mov_b32_e32 v69, v64
	v_mov_b32_e32 v122, v137
	;; [unrolled: 1-line block ×3, first 2 shown]
	v_pk_add_f32 v[58:59], v[22:23], v[26:27]
	v_pk_add_f32 v[22:23], v[112:113], v[160:161]
	v_mov_b32_e32 v51, v9
	v_pk_add_f32 v[8:9], v[68:69], v[176:177]
	v_mov_b32_e32 v67, v76
	v_mov_b32_e32 v55, v49
	v_pk_add_f32 v[2:3], v[122:123], v[2:3]
	v_pk_add_f32 v[22:23], v[114:115], v[22:23]
	;; [unrolled: 1-line block ×3, first 2 shown]
	v_mov_b32_e32 v79, v86
	v_pk_add_f32 v[0:1], v[94:95], v[0:1]
	v_pk_add_f32 v[2:3], v[54:55], v[2:3]
	;; [unrolled: 1-line block ×3, first 2 shown]
	v_mov_b32_e32 v10, v141
	v_mov_b32_e32 v141, v107
	v_pk_add_f32 v[22:23], v[126:127], v[22:23]
	v_pk_add_f32 v[8:9], v[78:79], v[8:9]
	;; [unrolled: 1-line block ×5, first 2 shown]
	v_mov_b32_e32 v107, v98
	v_pk_add_f32 v[34:35], v[10:11], v[2:3]
	v_pk_add_f32 v[36:37], v[56:57], v[0:1]
	;; [unrolled: 1-line block ×4, first 2 shown]
	v_mov_b32_e32 v6, v19
	v_pk_add_f32 v[26:27], v[120:121], v[26:27]
	v_pk_add_f32 v[40:41], v[16:17], v[38:39]
	;; [unrolled: 1-line block ×5, first 2 shown]
	v_mov_b32_e32 v0, v109
	v_mov_b32_e32 v2, v83
	v_pk_add_f32 v[26:27], v[130:131], v[26:27]
	v_pk_add_f32 v[0:1], v[0:1], v[2:3]
	;; [unrolled: 1-line block ×3, first 2 shown]
	v_mov_b32_e32 v1, v99
	v_pk_add_f32 v[46:47], v[62:63], v[52:53]
	v_pk_add_f32 v[62:63], v[14:15], v[4:5]
	;; [unrolled: 1-line block ×4, first 2 shown]
	v_mul_lo_u16_e32 v104, 13, v73
	s_barrier
	s_and_saveexec_b64 s[2:3], vcc
	s_cbranch_execz .LBB0_7
; %bb.6:
	v_lshlrev_b32_e32 v4, 3, v104
	v_mov_b32_e32 v0, v34
	v_mov_b32_e32 v1, v60
	ds_write2_b64 v4, v[30:31], v[0:1] offset1:1
	v_mov_b32_e32 v0, v28
	v_mov_b32_e32 v1, v56
	v_mov_b32_e32 v2, v61
	v_mov_b32_e32 v3, v35
	ds_write2_b64 v4, v[0:1], v[2:3] offset0:2 offset1:3
	v_mov_b32_e32 v0, v48
	v_mov_b32_e32 v1, v40
	ds_write2_b64 v4, v[0:1], v[46:47] offset0:4 offset1:5
	v_mov_b32_e32 v0, v29
	v_mov_b32_e32 v1, v57
	;; [unrolled: 3-line block ×3, first 2 shown]
	v_mov_b32_e32 v2, v38
	v_mov_b32_e32 v3, v62
	ds_write2_b64 v4, v[0:1], v[2:3] offset0:8 offset1:9
	v_mov_b32_e32 v0, v59
	v_mov_b32_e32 v1, v37
	;; [unrolled: 1-line block ×4, first 2 shown]
	ds_write2_b64 v4, v[0:1], v[2:3] offset0:10 offset1:11
	v_mov_b32_e32 v0, v49
	v_mov_b32_e32 v1, v41
	ds_write_b64 v4, v[0:1] offset:96
.LBB0_7:
	s_or_b64 exec, exec, s[2:3]
	s_load_dwordx2 s[14:15], s[0:1], 0x8
	s_movk_i32 s2, 0x41
	v_cmp_gt_u16_e64 s[2:3], s2, v73
	v_cmp_lt_u16_e64 s[4:5], 64, v73
	s_waitcnt lgkmcnt(0)
	s_barrier
	s_waitcnt lgkmcnt(0)
                                        ; implicit-def: $vgpr32
	s_and_saveexec_b64 s[8:9], s[4:5]
	s_xor_b64 s[8:9], exec, s[8:9]
; %bb.8:
	v_mov_b32_e32 v32, v31
; %bb.9:
	s_or_saveexec_b64 s[8:9], s[8:9]
	s_load_dwordx2 s[0:1], s[0:1], 0x20
                                        ; implicit-def: $vgpr54
	s_xor_b64 exec, exec, s[8:9]
	s_cbranch_execz .LBB0_11
; %bb.10:
	v_add_u32_e32 v0, 0x800, v70
	ds_read2_b64 v[32:35], v70 offset1:65
	ds_read2_b64 v[28:31], v70 offset0:130 offset1:195
	ds_read2_b64 v[44:47], v0 offset0:4 offset1:69
	;; [unrolled: 1-line block ×3, first 2 shown]
	v_add_u32_e32 v0, 0x1000, v70
	ds_read2_b64 v[36:39], v0 offset0:8 offset1:73
	ds_read2_b64 v[0:3], v0 offset0:138 offset1:203
	v_add_u32_e32 v4, 0x1800, v70
	ds_read2_b64 v[40:43], v4 offset0:12 offset1:77
	ds_read2_b64 v[52:55], v4 offset0:142 offset1:207
	s_waitcnt lgkmcnt(0)
	v_mov_b32_e32 v60, v35
	v_mov_b32_e32 v58, v37
	v_mov_b32_e32 v59, v0
	v_mov_b32_e32 v37, v1
	v_mov_b32_e32 v61, v30
	v_mov_b32_e32 v35, v31
	v_mov_b32_e32 v62, v39
	v_mov_b32_e32 v63, v2
	v_mov_b32_e32 v39, v3
	v_mov_b32_e32 v56, v29
	v_mov_b32_e32 v57, v49
	v_mov_b32_e32 v29, v48
	v_mov_b32_e32 v48, v44
	v_mov_b32_e32 v49, v40
	v_mov_b32_e32 v40, v45
	v_mov_b32_e32 v30, v32
	v_mov_b32_e32 v32, v33
.LBB0_11:
	s_or_b64 exec, exec, s[8:9]
	s_movk_i32 s8, 0x4f
	v_mul_lo_u16_sdwa v0, v73, s8 dst_sel:DWORD dst_unused:UNUSED_PAD src0_sel:BYTE_0 src1_sel:DWORD
	v_lshrrev_b16_e32 v105, 10, v0
	v_mul_lo_u16_e32 v0, 13, v105
	v_sub_u16_e32 v0, v73, v0
	v_and_b32_e32 v106, 0xff, v0
	s_movk_i32 s8, 0x78
	v_mov_b64_e32 v[0:1], s[14:15]
	v_mad_u64_u32 v[44:45], s[8:9], v106, s8, v[0:1]
	global_load_dwordx4 v[0:3], v[44:45], off
	global_load_dwordx4 v[8:11], v[44:45], off offset:16
	global_load_dwordx4 v[4:7], v[44:45], off offset:32
	;; [unrolled: 1-line block ×6, first 2 shown]
	global_load_dwordx2 v[74:75], v[44:45], off offset:112
	v_mov_b32_e32 v44, v37
	v_mov_b32_e32 v64, v41
	s_mov_b32 s8, 0x3ec3ef15
	s_mov_b32 s9, 0x3f3504f3
	;; [unrolled: 1-line block ×5, first 2 shown]
	s_waitcnt lgkmcnt(0)
	s_barrier
	s_waitcnt vmcnt(7)
	v_mov_b32_e32 v66, v1
	s_waitcnt vmcnt(6)
	v_mov_b32_e32 v84, v11
	s_waitcnt vmcnt(5)
	v_mul_f32_e32 v33, v47, v5
	v_mul_f32_e32 v65, v46, v5
	;; [unrolled: 1-line block ×3, first 2 shown]
	s_waitcnt vmcnt(2)
	v_pk_mul_f32 v[86:87], v[48:49], v[26:27]
	v_mul_f32_e32 v79, v51, v13
	v_mov_b32_e32 v78, v17
	v_pk_mul_f32 v[80:81], v[58:59], v[18:19]
	v_mov_b32_e32 v85, v27
	s_waitcnt vmcnt(1)
	v_mul_f32_e32 v86, v43, v21
	v_mul_f32_e32 v91, v53, v23
	;; [unrolled: 1-line block ×3, first 2 shown]
	s_waitcnt vmcnt(0)
	v_mul_f32_e32 v92, v55, v75
	v_mul_f32_e32 v88, v50, v13
	;; [unrolled: 1-line block ×3, first 2 shown]
	v_pk_mul_f32 v[66:67], v[60:61], v[66:67]
	v_fma_f32 v33, v46, v4, -v33
	v_fmac_f32_e32 v65, v47, v4
	v_fma_f32 v71, -v57, v7, v71
	v_fma_f32 v95, v50, v12, -v79
	v_pk_mul_f32 v[46:47], v[62:63], v[78:79]
	v_mov_b32_e32 v50, v81
	v_pk_mul_f32 v[78:79], v[40:41], v[84:85]
	v_mov_b32_e32 v80, v87
	v_fma_f32 v81, v42, v20, -v86
	v_fma_f32 v84, v52, v22, -v91
	v_fmac_f32_e32 v45, v53, v22
	v_fma_f32 v85, v54, v74, -v92
	v_mov_b32_e32 v86, v1
	v_mov_b32_e32 v87, v9
	v_mul_f32_e32 v31, v35, v8
	v_fmac_f32_e32 v88, v51, v12
	v_fmac_f32_e32 v90, v43, v20
	v_pk_fma_f32 v[42:43], v[34:35], v[0:1], v[66:67] neg_lo:[0,0,1] neg_hi:[0,0,1]
	v_pk_fma_f32 v[50:51], v[44:45], v[18:19], v[50:51]
	v_sub_f32_e32 v44, v71, v84
	v_sub_f32_e32 v67, v95, v85
	v_mov_b32_e32 v84, v0
	v_mov_b32_e32 v85, v8
	v_pk_mul_f32 v[34:35], v[34:35], v[86:87]
	v_mul_f32_e32 v93, v54, v75
	v_mul_f32_e32 v94, v39, v24
	v_pk_fma_f32 v[86:87], v[60:61], v[84:85], v[34:35]
	v_pk_fma_f32 v[34:35], v[60:61], v[84:85], v[34:35] neg_lo:[0,0,1] neg_hi:[0,0,1]
	v_mov_b32_e32 v84, v15
	v_mov_b32_e32 v85, v19
	;; [unrolled: 1-line block ×4, first 2 shown]
	v_mul_f32_e32 v89, v36, v14
	v_mov_b32_e32 v82, v10
	v_mov_b32_e32 v83, v26
	v_fmac_f32_e32 v31, v61, v9
	v_fmac_f32_e32 v93, v55, v74
	v_fmac_f32_e32 v94, v63, v25
	v_pk_fma_f32 v[46:47], v[38:39], v[16:17], v[46:47] neg_lo:[0,0,1] neg_hi:[0,0,1]
	v_mov_b32_e32 v60, v14
	v_mov_b32_e32 v61, v18
	v_pk_mul_f32 v[36:37], v[36:37], v[84:85]
	v_pk_mul_f32 v[68:69], v[56:57], v[68:69]
	;; [unrolled: 1-line block ×3, first 2 shown]
	v_fma_f32 v89, -v58, v15, v89
	v_pk_fma_f32 v[48:49], v[48:49], v[82:83], v[78:79] neg_lo:[0,0,1] neg_hi:[0,0,1]
	v_pk_fma_f32 v[54:55], v[64:65], v[26:27], v[80:81]
	v_sub_f32_e32 v64, v33, v81
	v_sub_f32_e32 v47, v31, v94
	;; [unrolled: 1-line block ×3, first 2 shown]
	v_pk_fma_f32 v[84:85], v[58:59], v[14:15], v[36:37]
	v_pk_fma_f32 v[36:37], v[58:59], v[60:61], v[36:37] neg_lo:[0,0,1] neg_hi:[0,0,1]
	v_mov_b32_e32 v58, v17
	v_mov_b32_e32 v59, v25
	v_pk_fma_f32 v[52:53], v[28:29], v[2:3], v[68:69] neg_lo:[0,0,1] neg_hi:[0,0,1]
	v_fma_f32 v69, v33, 2.0, -v64
	v_fma_f32 v78, v31, 2.0, -v47
	;; [unrolled: 1-line block ×3, first 2 shown]
	v_add_f32_e32 v33, v47, v67
	v_mov_b32_e32 v85, v37
	v_mov_b32_e32 v36, v16
	;; [unrolled: 1-line block ×3, first 2 shown]
	v_pk_mul_f32 v[38:39], v[38:39], v[58:59]
	v_sub_f32_e32 v82, v78, v31
	v_fma_f32 v31, v47, 2.0, -v33
	v_pk_fma_f32 v[58:59], v[62:63], v[16:17], v[38:39]
	v_pk_fma_f32 v[36:37], v[62:63], v[36:37], v[38:39] neg_lo:[0,0,1] neg_hi:[0,0,1]
	v_mov_b32_e32 v47, 2.0
	v_pk_fma_f32 v[40:41], v[40:41], v[10:11], v[76:77]
	v_mov_b32_e32 v87, v35
	v_mov_b32_e32 v59, v37
	v_pk_add_f32 v[38:39], v[42:43], v[46:47] op_sel_hi:[0,1] neg_lo:[0,1] neg_hi:[0,1]
	v_pk_mul_f32 v[42:43], v[42:43], v[46:47] op_sel_hi:[0,1]
	v_sub_f32_e32 v66, v65, v90
	v_mov_b32_e32 v68, v49
	v_pk_add_f32 v[54:55], v[40:41], v[54:55] neg_lo:[0,1] neg_hi:[0,1]
	v_mov_b32_e32 v39, v43
	v_pk_add_f32 v[42:43], v[86:87], v[58:59] neg_lo:[0,1] neg_hi:[0,1]
	v_fma_f32 v55, v65, 2.0, -v66
	v_fma_f32 v77, v95, 2.0, -v67
	v_pk_add_f32 v[80:81], v[48:49], v[68:69] neg_lo:[0,1] neg_hi:[0,1]
	v_mul_f32_e32 v76, 0x3f3504f3, v33
	v_mov_b32_e32 v33, v52
	v_add_f32_e32 v65, v35, v35
	v_mov_b32_e32 v67, v38
	v_sub_f32_e32 v35, v43, v79
	v_add_f32_e32 v81, v52, v52
	v_pk_add_f32 v[36:37], v[32:33], v[84:85] neg_lo:[0,1] neg_hi:[0,1]
	v_pk_add_f32 v[66:67], v[38:39], v[66:67] neg_lo:[0,1] neg_hi:[0,1]
	v_mul_f32_e32 v68, 0x3f3504f3, v35
	v_fma_f32 v48, v48, 2.0, -v80
	v_pk_add_f32 v[58:59], v[80:81], v[36:37]
	v_pk_add_f32 v[60:61], v[80:81], v[36:37] neg_lo:[0,1] neg_hi:[0,1]
	v_pk_add_f32 v[80:81], v[66:67], v[68:69]
	v_pk_add_f32 v[62:63], v[66:67], v[68:69] neg_lo:[0,1] neg_hi:[0,1]
	;; [unrolled: 2-line block ×3, first 2 shown]
	v_fma_f32 v40, v40, 2.0, -v54
	v_fma_f32 v33, v32, 2.0, -v36
	v_add_f32_e32 v52, v36, v36
	v_mov_b32_e32 v81, v63
	v_mov_b32_e32 v79, v65
	v_fma_f32 v36, v38, 2.0, -v66
	v_pk_add_f32 v[38:39], v[84:85], v[76:77]
	v_pk_add_f32 v[64:65], v[64:65], v[76:77] neg_lo:[0,1] neg_hi:[0,1]
	v_mov_b32_e32 v77, v82
	v_mov_b32_e32 v96, v3
	;; [unrolled: 1-line block ×3, first 2 shown]
	v_sub_f32_e32 v47, v33, v40
	v_mov_b32_e32 v32, v84
	v_fma_f32 v40, v42, 2.0, -v84
	v_pk_add_f32 v[84:85], v[80:81], v[76:77] neg_lo:[0,1] neg_hi:[0,1]
	v_mov_b32_e32 v76, v2
	v_mov_b32_e32 v77, v6
	v_pk_mul_f32 v[28:29], v[28:29], v[96:97]
	v_fma_f32 v41, v71, 2.0, -v44
	v_pk_fma_f32 v[28:29], v[56:57], v[76:77], v[28:29]
	v_fma_f32 v35, v43, 2.0, -v35
	v_pk_add_f32 v[50:51], v[28:29], v[50:51] neg_lo:[0,1] neg_hi:[0,1]
	v_fma_f32 v34, v86, 2.0, -v42
	v_pk_add_f32 v[56:57], v[50:51], v[44:45]
	v_pk_add_f32 v[44:45], v[28:29], v[44:45] neg_lo:[0,1] neg_hi:[0,1]
	v_fmamk_f32 v42, v35, 0xbf3504f3, v36
	v_mov_b32_e32 v51, v45
	v_sub_f32_e32 v53, v30, v89
	v_fmac_f32_e32 v42, 0xbf3504f3, v31
	v_mov_b32_e32 v57, v45
	v_pk_fma_f32 v[44:45], v[28:29], 2.0, v[50:51] op_sel_hi:[1,0,1] neg_lo:[0,0,1] neg_hi:[0,0,1]
	v_mov_b32_e32 v28, v58
	v_mov_b32_e32 v29, v54
	v_fma_f32 v71, v36, 2.0, -v42
	v_add_f32_e32 v36, v50, v50
	v_pk_add_f32 v[50:51], v[52:53], v[28:29] neg_lo:[0,1] neg_hi:[0,1]
	v_mov_b32_e32 v28, v45
	v_pk_add_f32 v[96:97], v[44:45], v[28:29] neg_lo:[0,1] neg_hi:[0,1]
	v_pk_add_f32 v[28:29], v[36:37], v[56:57] neg_lo:[0,1] neg_hi:[0,1]
	v_fmamk_f32 v64, v31, 0xbf3504f3, v40
	v_fma_f32 v36, v37, 2.0, -v29
	v_mov_b32_e32 v37, v56
	v_fmac_f32_e32 v64, 0x3f3504f3, v35
	v_pk_mul_f32 v[56:57], v[36:37], s[18:19] op_sel_hi:[1,0]
	v_mov_b32_e32 v60, v58
	v_fma_f32 v88, v40, 2.0, -v64
	v_mov_b32_e32 v40, v57
	v_sub_f32_e32 v55, v34, v55
	v_mov_b32_e32 v49, v56
	v_pk_add_f32 v[56:57], v[58:59], v[56:57] op_sel:[0,1] op_sel_hi:[1,0]
	v_pk_add_f32 v[40:41], v[60:61], v[40:41] neg_lo:[0,1] neg_hi:[0,1]
	v_pk_mul_f32 v[58:59], v[28:29], s[18:19] op_sel_hi:[1,0]
	v_mov_b32_e32 v39, v65
	v_mov_b32_e32 v69, v55
	;; [unrolled: 1-line block ×3, first 2 shown]
	v_pk_fma_f32 v[76:77], v[28:29], s[18:19], v[50:51] op_sel_hi:[1,0,1] neg_lo:[1,0,0] neg_hi:[1,0,0]
	v_pk_fma_f32 v[28:29], v[28:29], s[18:19], v[50:51] op_sel_hi:[1,0,1]
	v_mov_b32_e32 v46, v59
	v_pk_add_f32 v[68:69], v[68:69], v[38:39]
	v_mov_b32_e32 v28, v76
	v_pk_add_f32 v[102:103], v[46:47], v[56:57]
	v_mov_b32_e32 v46, v60
	v_mov_b32_e32 v54, v32
	v_pk_fma_f32 v[98:99], v[36:37], s[18:19], v[76:77] op_sel_hi:[1,0,1]
	v_pk_fma_f32 v[100:101], v[36:37], s[18:19], v[28:29] op_sel_hi:[1,0,1] neg_lo:[1,0,0] neg_hi:[1,0,0]
	v_mov_b32_e32 v62, v66
	v_pk_fma_f32 v[56:57], v[54:55], 2.0, v[68:69] op_sel_hi:[1,0,1] neg_lo:[0,0,1] neg_hi:[0,0,1]
	v_pk_fma_f32 v[28:29], v[46:47], 2.0, v[102:103] op_sel_hi:[1,0,1] neg_lo:[0,0,1] neg_hi:[0,0,1]
	v_mov_b32_e32 v99, v101
	v_pk_fma_f32 v[36:37], v[62:63], 2.0, v[84:85] op_sel_hi:[1,0,1] neg_lo:[0,0,1] neg_hi:[0,0,1]
	v_pk_mul_f32 v[108:109], v[56:57], s[8:9]
	v_mul_f32_e32 v111, 0x3f6c835e, v56
	v_pk_fma_f32 v[56:57], v[56:57], s[8:9], v[28:29] neg_lo:[1,0,0] neg_hi:[1,0,0]
	v_mov_b32_e32 v65, v84
	s_mov_b32 s18, s8
	s_mov_b32 s19, s10
	v_mul_f32_e32 v59, 0x3ec3ef15, v36
	v_pk_mul_f32 v[112:113], v[36:37], s[10:11]
	v_pk_fma_f32 v[62:63], v[36:37], s[10:11], v[56:57]
	v_pk_fma_f32 v[36:37], v[64:65], s[18:19], v[98:99]
	v_mov_b32_e32 v43, v68
	s_mov_b32 s18, s10
	s_mov_b32 s19, s8
	v_pk_fma_f32 v[76:77], v[42:43], s[18:19], v[36:37]
	v_pk_fma_f32 v[36:37], v[42:43], s[18:19], v[36:37] neg_lo:[1,0,0] neg_hi:[1,0,0]
	v_mov_b32_e32 v31, v53
	v_mov_b32_e32 v77, v37
	;; [unrolled: 1-line block ×4, first 2 shown]
	v_pk_fma_f32 v[36:37], v[30:31], 2.0, v[36:37] op_sel_hi:[1,0,1] neg_lo:[0,0,1] neg_hi:[0,0,1]
	v_mov_b32_e32 v35, v67
	v_mov_b32_e32 v80, v55
	;; [unrolled: 1-line block ×3, first 2 shown]
	v_mul_f32_e32 v89, 0x3ec3ef15, v42
	v_pk_add_f32 v[48:49], v[36:37], v[48:49] neg_lo:[0,1] neg_hi:[0,1]
	v_mov_b32_e32 v97, v58
	v_pk_fma_f32 v[34:35], v[34:35], 2.0, v[80:81] op_sel_hi:[1,0,1] neg_lo:[0,0,1] neg_hi:[0,0,1]
	v_pk_fma_f32 v[42:43], v[78:79], 2.0, v[82:83] op_sel_hi:[1,0,1] neg_lo:[0,0,1] neg_hi:[0,0,1]
	v_pk_add_f32 v[52:53], v[48:49], v[96:97] neg_lo:[0,1] neg_hi:[0,1]
	v_mov_b32_e32 v49, v47
	v_pk_add_f32 v[46:47], v[34:35], v[42:43] neg_lo:[0,1] neg_hi:[0,1]
	v_mov_b32_e32 v30, v61
	v_mov_b32_e32 v31, v44
	;; [unrolled: 1-line block ×3, first 2 shown]
	v_fma_f32 v87, v35, 2.0, -v47
	v_fma_f32 v60, v34, 2.0, -v46
	v_mov_b32_e32 v34, v41
	v_mov_b32_e32 v35, v96
	v_pk_fma_f32 v[32:33], v[32:33], 2.0, v[48:49] op_sel_hi:[1,0,1] neg_lo:[0,0,1] neg_hi:[0,0,1]
	v_pk_fma_f32 v[30:31], v[30:31], 2.0, v[34:35] op_sel_hi:[1,0,1] neg_lo:[0,0,1] neg_hi:[0,0,1]
	v_add_f32_e32 v41, v32, v32
	v_pk_add_f32 v[30:31], v[32:33], v[30:31] neg_lo:[0,1] neg_hi:[0,1]
	v_mov_b32_e32 v32, v37
	v_fma_f32 v34, v33, 2.0, -v31
	v_mov_b32_e32 v33, v50
	v_mov_b32_e32 v66, v53
	;; [unrolled: 1-line block ×3, first 2 shown]
	v_pk_fma_f32 v[32:33], v[32:33], 2.0, v[66:67] op_sel_hi:[1,0,1] neg_lo:[0,0,1] neg_hi:[0,0,1]
	v_mul_f32_e32 v38, 0x3f6c835e, v71
	v_mov_b32_e32 v40, v32
	v_mov_b32_e32 v39, v30
	;; [unrolled: 1-line block ×4, first 2 shown]
	v_pk_add_f32 v[42:43], v[40:41], v[38:39] neg_lo:[0,1] neg_hi:[0,1]
	v_pk_fma_f32 v[38:39], v[48:49], 2.0, v[100:101] op_sel_hi:[1,0,1] neg_lo:[0,0,1] neg_hi:[0,0,1]
	v_mov_b32_e32 v58, v113
	v_pk_mul_f32 v[92:93], v[84:85], s[8:9]
	v_pk_add_f32 v[36:37], v[38:39], v[58:59] neg_lo:[0,1] neg_hi:[0,1]
	v_mov_b32_e32 v110, v109
	v_mul_f32_e32 v86, 0x3ec3ef15, v88
	v_mul_f32_e32 v91, 0x3f6c835e, v64
	v_pk_mul_f32 v[94:95], v[68:69], s[10:11]
	v_fmamk_f32 v45, v88, 0xbf6c835e, v33
	v_pk_add_f32 v[54:55], v[36:37], v[110:111] neg_lo:[0,1] neg_hi:[0,1]
	v_pk_add_f32 v[64:65], v[30:31], v[46:47] neg_lo:[0,1] neg_hi:[0,1]
	v_pk_add_f32 v[36:37], v[30:31], v[46:47]
	v_mov_b32_e32 v88, v93
	v_mov_b32_e32 v65, v37
	v_pk_add_f32 v[36:37], v[52:53], v[88:89]
	v_mov_b32_e32 v90, v95
	v_pk_fma_f32 v[46:47], v[68:69], s[10:11], v[102:103]
	v_pk_add_f32 v[36:37], v[36:37], v[90:91] neg_lo:[0,1] neg_hi:[0,1]
	v_pk_fma_f32 v[78:79], v[84:85], s[8:9], v[46:47]
	v_mov_b32_e32 v40, v37
	v_mov_b32_e32 v41, v76
	;; [unrolled: 1-line block ×5, first 2 shown]
	v_add_f32_e32 v35, v101, v101
	v_mov_b32_e32 v61, v77
	v_fmac_f32_e32 v45, 0x3ec3ef15, v71
	v_pk_add_f32 v[56:57], v[42:43], v[86:87] neg_lo:[0,1] neg_hi:[0,1]
	v_pk_fma_f32 v[48:49], v[66:67], 2.0, v[40:41] op_sel_hi:[1,0,1] neg_lo:[0,0,1] neg_hi:[0,0,1]
	v_pk_fma_f32 v[50:51], v[52:53], 2.0, v[46:47] op_sel_hi:[1,0,1] neg_lo:[0,0,1] neg_hi:[0,0,1]
	v_pk_add_f32 v[66:67], v[34:35], v[60:61] neg_lo:[0,1] neg_hi:[0,1]
	v_fma_f32 v53, v102, 2.0, -v78
	s_and_saveexec_b64 s[8:9], s[2:3]
	s_cbranch_execz .LBB0_13
; %bb.12:
	v_mul_u32_u24_e32 v35, 0xd0, v105
	v_or_b32_e32 v35, v35, v106
	v_lshlrev_b32_e32 v58, 3, v35
	v_mov_b32_e32 v42, v43
	v_mov_b32_e32 v43, v34
	;; [unrolled: 1-line block ×5, first 2 shown]
	v_pk_fma_f32 v[42:43], v[42:43], 2.0, v[34:35] op_sel_hi:[1,0,1] neg_lo:[0,0,1] neg_hi:[0,0,1]
	v_pk_fma_f32 v[32:33], v[32:33], 2.0, v[44:45] op_sel_hi:[1,0,1] neg_lo:[0,0,1] neg_hi:[0,0,1]
	ds_write2_b64 v58, v[42:43], v[32:33] offset1:13
	v_mov_b32_e32 v32, v38
	v_mov_b32_e32 v33, v29
	;; [unrolled: 1-line block ×8, first 2 shown]
	v_pk_fma_f32 v[32:33], v[32:33], 2.0, v[42:43] op_sel_hi:[1,0,1] neg_lo:[0,0,1] neg_hi:[0,0,1]
	v_pk_fma_f32 v[38:39], v[38:39], 2.0, v[28:29] op_sel_hi:[1,0,1] neg_lo:[0,0,1] neg_hi:[0,0,1]
	;; [unrolled: 1-line block ×3, first 2 shown]
	v_mov_b32_e32 v52, v67
	ds_write2_b64 v58, v[32:33], v[38:39] offset0:26 offset1:39
	ds_write2_b64 v58, v[30:31], v[48:49] offset0:52 offset1:65
	;; [unrolled: 1-line block ×6, first 2 shown]
	v_mov_b32_e32 v28, v77
	v_mov_b32_e32 v29, v78
	ds_write2_b64 v58, v[46:47], v[28:29] offset0:182 offset1:195
.LBB0_13:
	s_or_b64 exec, exec, s[8:9]
	v_lshlrev_b32_e32 v38, 5, v73
	s_load_dwordx4 s[8:11], s[0:1], 0x0
	s_waitcnt lgkmcnt(0)
	s_barrier
	global_load_dwordx4 v[28:31], v38, s[14:15] offset:1576
	global_load_dwordx4 v[32:35], v38, s[14:15] offset:1560
	v_add_u32_e32 v71, 0xc00, v70
	ds_read_b64 v[42:43], v70 offset:6656
	ds_read2_b64 v[38:41], v71 offset0:32 offset1:240
	ds_read2_b64 v[58:61], v70 offset1:208
	s_mov_b32 s0, 0x3f737871
	s_mov_b32 s14, 0x3f167918
	;; [unrolled: 1-line block ×3, first 2 shown]
	s_waitcnt vmcnt(1) lgkmcnt(1)
	v_pk_mul_f32 v[46:47], v[40:41], v[28:29] op_sel:[0,1]
	v_mov_b32_e32 v44, v31
	s_waitcnt vmcnt(0) lgkmcnt(0)
	v_pk_mul_f32 v[68:69], v[60:61], v[32:33] op_sel:[0,1]
	v_mov_b32_e32 v52, v35
	v_pk_fma_f32 v[80:81], v[40:41], v[28:29], v[46:47] op_sel:[0,0,1] op_sel_hi:[1,1,0] neg_lo:[0,0,1] neg_hi:[0,0,1]
	v_pk_fma_f32 v[40:41], v[40:41], v[28:29], v[46:47] op_sel:[0,0,1] op_sel_hi:[1,0,0]
	v_pk_mul_f32 v[46:47], v[42:43], v[44:45] op_sel_hi:[1,0]
	v_pk_fma_f32 v[82:83], v[60:61], v[32:33], v[68:69] op_sel:[0,0,1] op_sel_hi:[1,1,0] neg_lo:[0,0,1] neg_hi:[0,0,1]
	v_pk_fma_f32 v[60:61], v[60:61], v[32:33], v[68:69] op_sel:[0,0,1] op_sel_hi:[1,0,0]
	v_pk_mul_f32 v[68:69], v[38:39], v[52:53] op_sel_hi:[1,0]
	v_mov_b32_e32 v81, v41
	v_pk_fma_f32 v[40:41], v[42:43], v[30:31], v[46:47] op_sel:[0,0,1] op_sel_hi:[1,1,0] neg_lo:[0,0,1] neg_hi:[0,0,1]
	v_pk_fma_f32 v[42:43], v[42:43], v[30:31], v[46:47] op_sel:[0,0,1] op_sel_hi:[1,0,0]
	v_mov_b32_e32 v83, v61
	v_pk_fma_f32 v[46:47], v[38:39], v[34:35], v[68:69] op_sel:[0,0,1] op_sel_hi:[1,1,0] neg_lo:[0,0,1] neg_hi:[0,0,1]
	v_pk_fma_f32 v[38:39], v[38:39], v[34:35], v[68:69] op_sel:[0,0,1] op_sel_hi:[1,0,0]
	v_mov_b32_e32 v41, v43
	v_mov_b32_e32 v47, v39
	v_pk_add_f32 v[38:39], v[58:59], v[82:83]
	v_pk_add_f32 v[42:43], v[46:47], v[80:81]
	v_pk_add_f32 v[60:61], v[82:83], v[40:41] neg_lo:[0,1] neg_hi:[0,1]
	v_pk_add_f32 v[68:69], v[46:47], v[80:81] neg_lo:[0,1] neg_hi:[0,1]
	v_pk_add_f32 v[38:39], v[38:39], v[46:47]
	v_pk_add_f32 v[88:89], v[82:83], v[40:41]
	v_pk_add_f32 v[84:85], v[82:83], v[46:47] neg_lo:[0,1] neg_hi:[0,1]
	v_pk_add_f32 v[46:47], v[46:47], v[82:83] neg_lo:[0,1] neg_hi:[0,1]
	;; [unrolled: 1-line block ×3, first 2 shown]
	v_pk_fma_f32 v[42:43], v[42:43], 0.5, v[58:59] op_sel_hi:[1,0,1] neg_lo:[1,0,0] neg_hi:[1,0,0]
	v_pk_mul_f32 v[90:91], v[60:61], s[0:1] op_sel_hi:[1,0]
	v_pk_mul_f32 v[92:93], v[68:69], s[14:15] op_sel_hi:[1,0]
	v_pk_add_f32 v[38:39], v[38:39], v[80:81]
	v_pk_fma_f32 v[58:59], v[88:89], 0.5, v[58:59] op_sel_hi:[1,0,1] neg_lo:[1,0,0] neg_hi:[1,0,0]
	v_pk_mul_f32 v[68:69], v[68:69], s[0:1] op_sel_hi:[1,0]
	v_pk_add_f32 v[86:87], v[40:41], v[80:81] neg_lo:[0,1] neg_hi:[0,1]
	v_pk_mul_f32 v[60:61], v[60:61], s[14:15] op_sel_hi:[1,0]
	v_pk_add_f32 v[80:81], v[46:47], v[82:83]
	v_pk_add_f32 v[38:39], v[38:39], v[40:41]
	v_pk_add_f32 v[40:41], v[42:43], v[90:91] op_sel:[0,1] op_sel_hi:[1,0]
	v_pk_add_f32 v[42:43], v[42:43], v[90:91] op_sel:[0,1] op_sel_hi:[1,0] neg_lo:[0,1] neg_hi:[0,1]
	v_pk_add_f32 v[46:47], v[58:59], v[68:69] op_sel:[0,1] op_sel_hi:[1,0] neg_lo:[0,1] neg_hi:[0,1]
	v_pk_add_f32 v[58:59], v[58:59], v[68:69] op_sel:[0,1] op_sel_hi:[1,0]
	v_pk_add_f32 v[42:43], v[42:43], v[92:93] op_sel:[0,1] op_sel_hi:[1,0] neg_lo:[0,1] neg_hi:[0,1]
	v_pk_add_f32 v[40:41], v[40:41], v[92:93] op_sel:[0,1] op_sel_hi:[1,0]
	;; [unrolled: 2-line block ×3, first 2 shown]
	v_pk_add_f32 v[84:85], v[84:85], v[86:87]
	v_mov_b32_e32 v58, v40
	v_mov_b32_e32 v59, v43
	v_mov_b32_e32 v43, v41
	v_mov_b32_e32 v60, v46
	v_mov_b32_e32 v61, v69
	v_mov_b32_e32 v69, v47
	v_pk_fma_f32 v[40:41], v[84:85], s[18:19], v[58:59] op_sel_hi:[1,0,1]
	v_pk_fma_f32 v[46:47], v[84:85], s[18:19], v[42:43] op_sel_hi:[1,0,1]
	;; [unrolled: 1-line block ×4, first 2 shown]
	ds_write2_b64 v70, v[38:39], v[40:41] offset1:208
	ds_write2_b64 v71, v[58:59], v[60:61] offset0:32 offset1:240
	ds_write_b64 v70, v[46:47] offset:6656
	s_waitcnt lgkmcnt(0)
	s_barrier
	s_and_saveexec_b64 s[14:15], vcc
	s_cbranch_execz .LBB0_15
; %bb.14:
	s_add_u32 s18, s12, 0x2080
	s_addc_u32 s19, s13, 0
	global_load_dwordx2 v[42:43], v70, s[18:19]
	global_load_dwordx2 v[68:69], v70, s[18:19] offset:640
	global_load_dwordx2 v[108:109], v70, s[18:19] offset:1280
	v_mov_b32_e32 v71, 0
	s_movk_i32 s0, 0x1000
	v_lshl_add_u64 v[80:81], s[18:19], 0, v[70:71]
	v_add_co_u32_e64 v80, s[0:1], s0, v80
	v_or_b32_e32 v44, 0x1400, v70
	s_nop 0
	v_addc_co_u32_e64 v81, s[0:1], 0, v81, s[0:1]
	global_load_dwordx2 v[110:111], v70, s[18:19] offset:1920
	global_load_dwordx2 v[112:113], v70, s[18:19] offset:2560
	;; [unrolled: 1-line block ×4, first 2 shown]
	global_load_dwordx2 v[118:119], v[80:81], off offset:384
	global_load_dwordx2 v[120:121], v44, s[18:19]
	global_load_dwordx2 v[122:123], v[80:81], off offset:1664
	global_load_dwordx2 v[124:125], v[80:81], off offset:2304
	;; [unrolled: 1-line block ×4, first 2 shown]
	ds_read_b64 v[80:81], v70
	v_add_u32_e32 v44, 0x400, v70
	v_add_u32_e32 v52, 0x800, v70
	;; [unrolled: 1-line block ×5, first 2 shown]
	s_waitcnt vmcnt(12) lgkmcnt(0)
	v_mul_f32_e32 v82, v81, v43
	v_mul_f32_e32 v83, v80, v43
	v_fma_f32 v82, v80, v42, -v82
	v_fmac_f32_e32 v83, v81, v42
	ds_write_b64 v70, v[82:83]
	ds_read2_b64 v[80:83], v70 offset0:80 offset1:160
	ds_read2_b64 v[84:87], v44 offset0:112 offset1:192
	;; [unrolled: 1-line block ×6, first 2 shown]
	s_waitcnt vmcnt(11) lgkmcnt(5)
	v_mul_f32_e32 v42, v81, v69
	v_mul_f32_e32 v43, v80, v69
	s_waitcnt vmcnt(10)
	v_mul_f32_e32 v131, v83, v109
	v_mul_f32_e32 v69, v82, v109
	s_waitcnt vmcnt(9) lgkmcnt(4)
	v_mul_f32_e32 v132, v85, v111
	v_mul_f32_e32 v109, v84, v111
	s_waitcnt vmcnt(8)
	v_mul_f32_e32 v133, v87, v113
	v_mul_f32_e32 v111, v86, v113
	s_waitcnt vmcnt(7) lgkmcnt(3)
	v_mul_f32_e32 v134, v89, v115
	v_mul_f32_e32 v113, v88, v115
	s_waitcnt vmcnt(6)
	v_mul_f32_e32 v135, v91, v117
	v_mul_f32_e32 v115, v90, v117
	s_waitcnt vmcnt(5) lgkmcnt(2)
	v_mul_f32_e32 v136, v93, v119
	v_mul_f32_e32 v117, v92, v119
	s_waitcnt vmcnt(4)
	v_mul_f32_e32 v137, v95, v121
	v_mul_f32_e32 v119, v94, v121
	s_waitcnt vmcnt(3) lgkmcnt(1)
	v_mul_f32_e32 v138, v97, v123
	v_mul_f32_e32 v121, v96, v123
	s_waitcnt vmcnt(2)
	v_mul_f32_e32 v139, v99, v125
	v_mul_f32_e32 v123, v98, v125
	s_waitcnt vmcnt(1) lgkmcnt(0)
	v_mul_f32_e32 v140, v101, v127
	v_mul_f32_e32 v125, v100, v127
	s_waitcnt vmcnt(0)
	v_mul_f32_e32 v141, v103, v129
	v_mul_f32_e32 v127, v102, v129
	v_fma_f32 v42, v80, v68, -v42
	v_fmac_f32_e32 v43, v81, v68
	v_fma_f32 v68, v82, v108, -v131
	v_fmac_f32_e32 v69, v83, v108
	;; [unrolled: 2-line block ×12, first 2 shown]
	ds_write2_b64 v70, v[42:43], v[68:69] offset0:80 offset1:160
	ds_write2_b64 v44, v[108:109], v[110:111] offset0:112 offset1:192
	;; [unrolled: 1-line block ×6, first 2 shown]
.LBB0_15:
	s_or_b64 exec, exec, s[14:15]
	s_waitcnt lgkmcnt(0)
	s_barrier
	s_and_saveexec_b64 s[0:1], s[6:7]
	s_xor_b64 s[0:1], exec, s[0:1]
	s_andn2_saveexec_b64 s[0:1], s[0:1]
	s_cbranch_execz .LBB0_17
; %bb.16:
	v_add_u32_e32 v42, 0x800, v70
	ds_read2_b64 v[38:41], v70 offset1:80
	ds_read2_b64 v[58:61], v70 offset0:160 offset1:240
	ds_read2_b64 v[46:49], v42 offset0:64 offset1:144
	v_add_u32_e32 v42, 0xc00, v70
	v_add_u32_e32 v43, 0x1800, v70
	ds_read2_b64 v[54:57], v43 offset0:32 offset1:112
	ds_read2_b64 v[50:53], v42 offset0:96 offset1:176
	v_add_u32_e32 v42, 0x1000, v70
	ds_read2_b64 v[42:45], v42 offset0:128 offset1:208
	ds_read_b64 v[64:65], v70 offset:7680
	s_waitcnt lgkmcnt(3)
	v_mov_b32_e32 v62, v57
	v_mov_b32_e32 v63, v55
	;; [unrolled: 1-line block ×3, first 2 shown]
	s_waitcnt lgkmcnt(1)
	v_mov_b32_e32 v56, v44
	v_mov_b32_e32 v57, v42
	;; [unrolled: 1-line block ×4, first 2 shown]
.LBB0_17:
	s_or_b64 exec, exec, s[0:1]
	v_pk_add_f32 v[42:43], v[40:41], v[38:39]
	v_mov_b32_e32 v52, v67
	v_pk_add_f32 v[42:43], v[58:59], v[42:43]
	v_mov_b32_e32 v68, v57
	;; [unrolled: 2-line block ×4, first 2 shown]
	v_pk_add_f32 v[42:43], v[48:49], v[42:43]
	v_pk_add_f32 v[96:97], v[48:49], v[56:57] op_sel:[0,1]
	v_pk_add_f32 v[42:43], v[50:51], v[42:43]
	s_waitcnt lgkmcnt(0)
	v_pk_add_f32 v[90:91], v[64:65], v[40:41]
	v_pk_add_f32 v[42:43], v[52:53], v[42:43]
	v_mov_b32_e32 v52, v45
	v_pk_add_f32 v[42:43], v[68:69], v[42:43]
	v_mov_b32_e32 v68, v54
	;; [unrolled: 2-line block ×4, first 2 shown]
	v_mov_b32_e32 v69, v62
	v_mov_b32_e32 v44, v45
	v_pk_add_f32 v[42:43], v[68:69], v[42:43]
	v_pk_add_f32 v[98:99], v[46:47], v[44:45] op_sel:[1,0] neg_lo:[0,1] neg_hi:[0,1]
	v_pk_add_f32 v[44:45], v[48:49], v[56:57] op_sel_hi:[0,1] neg_lo:[0,1] neg_hi:[0,1]
	v_pk_add_f32 v[42:43], v[64:65], v[42:43]
	v_pk_add_f32 v[64:65], v[40:41], v[64:65] neg_lo:[0,1] neg_hi:[0,1]
	v_pk_add_f32 v[84:85], v[58:59], v[54:55] op_sel:[0,1]
	v_pk_add_f32 v[40:41], v[58:59], v[54:55] op_sel_hi:[0,1] neg_lo:[0,1] neg_hi:[0,1]
	v_pk_add_f32 v[86:87], v[60:61], v[54:55]
	v_pk_add_f32 v[54:55], v[60:61], v[54:55] neg_lo:[0,1] neg_hi:[0,1]
	v_mov_b32_e32 v97, v45
	v_pk_add_f32 v[44:45], v[50:51], v[66:67] op_sel_hi:[0,1] neg_lo:[0,1] neg_hi:[0,1]
	v_mov_b32_e32 v87, v54
	v_pk_add_f32 v[92:93], v[46:47], v[56:57]
	v_pk_add_f32 v[54:55], v[46:47], v[56:57] neg_lo:[0,1] neg_hi:[0,1]
	v_pk_add_f32 v[80:81], v[46:47], v[52:53] op_sel_hi:[1,0]
	v_pk_add_f32 v[100:101], v[48:49], v[66:67] op_sel:[1,0] neg_lo:[0,1] neg_hi:[0,1]
	v_pk_add_f32 v[82:83], v[48:49], v[66:67] op_sel_hi:[1,0]
	v_pk_add_f32 v[48:49], v[50:51], v[66:67] op_sel:[0,1]
	v_mov_b32_e32 v44, v53
	v_mov_b32_e32 v46, v53
	s_mov_b32 s1, 0x3f62ad3f
	s_mov_b32 s0, 0xbeedf032
	;; [unrolled: 1-line block ×3, first 2 shown]
	v_mov_b32_e32 v49, v45
	v_pk_add_f32 v[66:67], v[50:51], v[44:45] op_sel:[1,0] neg_lo:[0,1] neg_hi:[0,1]
	v_pk_add_f32 v[44:45], v[50:51], v[46:47] op_sel_hi:[1,0]
	v_mov_b32_e32 v103, v91
	v_mov_b32_e32 v91, v64
	s_mov_b32 s6, s1
	s_mov_b32 s7, s0
	;; [unrolled: 1-line block ×3, first 2 shown]
	v_mov_b32_e32 v85, v41
	v_pk_add_f32 v[88:89], v[58:59], v[62:63] op_sel:[1,0] neg_lo:[0,1] neg_hi:[0,1]
	v_pk_add_f32 v[40:41], v[58:59], v[62:63] op_sel_hi:[1,0]
	v_mov_b32_e32 v67, v45
	v_mov_b32_e32 v102, v65
	v_pk_mul_f32 v[44:45], v[90:91], s[6:7]
	s_mov_b32 s26, s21
	s_mov_b32 s27, s20
	v_mov_b32_e32 v40, v88
	v_pk_fma_f32 v[46:47], v[102:103], s[0:1], v[44:45] neg_lo:[1,0,0] neg_hi:[1,0,0]
	v_pk_fma_f32 v[50:51], v[102:103], s[0:1], v[44:45]
	v_pk_mul_f32 v[52:53], v[84:85], s[26:27]
	s_mov_b32 s36, 0xbf7e222b
	v_mov_b32_e32 v93, v54
	v_mov_b32_e32 v47, v51
	v_pk_fma_f32 v[54:55], v[88:89], s[20:21], v[52:53] neg_lo:[1,0,0] neg_hi:[1,0,0]
	v_pk_fma_f32 v[56:57], v[40:41], s[20:21], v[52:53]
	s_mov_b32 s37, 0x3df6dbef
	v_pk_add_f32 v[94:95], v[60:61], v[62:63] neg_lo:[0,1] neg_hi:[0,1]
	v_pk_add_f32 v[68:69], v[60:61], v[62:63]
	v_pk_add_f32 v[46:47], v[38:39], v[46:47]
	v_mov_b32_e32 v55, v57
	s_mov_b32 s40, s37
	s_mov_b32 s41, s36
	v_mov_b32_e32 v68, v95
	v_pk_add_f32 v[46:47], v[54:55], v[46:47]
	v_pk_mul_f32 v[54:55], v[86:87], s[40:41]
	s_mov_b32 s6, 0xbf6f5d39
	v_pk_fma_f32 v[58:59], v[94:95], s[36:37], v[54:55] op_sel:[1,0,0] neg_lo:[1,0,0] neg_hi:[1,0,0]
	v_pk_fma_f32 v[60:61], v[68:69], s[36:37], v[54:55]
	s_mov_b32 s7, 0xbeb58ec6
	v_mov_b32_e32 v59, v61
	s_mov_b32 s18, s7
	s_mov_b32 s19, s6
	v_mov_b32_e32 v80, v98
	v_pk_add_f32 v[46:47], v[58:59], v[46:47]
	v_pk_mul_f32 v[58:59], v[92:93], s[18:19]
	s_mov_b32 s14, 0xbf29c268
	v_pk_fma_f32 v[62:63], v[98:99], s[6:7], v[58:59] neg_lo:[1,0,0] neg_hi:[1,0,0]
	v_pk_fma_f32 v[64:65], v[80:81], s[6:7], v[58:59]
	s_mov_b32 s15, 0xbf3f9e67
	v_pk_fma_f32 v[44:45], v[102:103], s[0:1], v[44:45] neg_lo:[0,0,1] neg_hi:[0,0,1]
	v_mov_b32_e32 v63, v65
	s_mov_b32 s24, s15
	s_mov_b32 s25, s14
	v_mov_b32_e32 v51, v45
	v_mov_b32_e32 v82, v100
	v_pk_add_f32 v[46:47], v[62:63], v[46:47]
	v_pk_mul_f32 v[62:63], v[96:97], s[24:25]
	v_pk_add_f32 v[44:45], v[38:39], v[50:51]
	v_pk_fma_f32 v[50:51], v[40:41], s[20:21], v[52:53] neg_lo:[0,0,1] neg_hi:[0,0,1]
	v_pk_fma_f32 v[108:109], v[100:101], s[14:15], v[62:63] neg_lo:[1,0,0] neg_hi:[1,0,0]
	v_pk_fma_f32 v[110:111], v[82:83], s[14:15], v[62:63]
	s_mov_b32 s22, 0xbe750f2a
	v_mov_b32_e32 v57, v51
	v_pk_fma_f32 v[50:51], v[68:69], s[36:37], v[54:55] neg_lo:[0,0,1] neg_hi:[0,0,1]
	v_mov_b32_e32 v109, v111
	s_mov_b32 s23, 0xbf788fa5
	v_pk_add_f32 v[44:45], v[56:57], v[44:45]
	v_mov_b32_e32 v61, v51
	v_pk_fma_f32 v[50:51], v[80:81], s[6:7], v[58:59] neg_lo:[0,0,1] neg_hi:[0,0,1]
	v_pk_add_f32 v[46:47], v[108:109], v[46:47]
	v_pk_mul_f32 v[108:109], v[66:67], s[22:23]
	s_mov_b32 s28, s23
	s_mov_b32 s29, s22
	v_pk_add_f32 v[44:45], v[60:61], v[44:45]
	v_mov_b32_e32 v65, v51
	v_pk_fma_f32 v[50:51], v[82:83], s[14:15], v[62:63] neg_lo:[0,0,1] neg_hi:[0,0,1]
	v_pk_add_f32 v[44:45], v[64:65], v[44:45]
	v_mov_b32_e32 v111, v51
	v_pk_fma_f32 v[50:51], v[48:49], s[28:29], v[108:109]
	v_pk_fma_f32 v[52:53], v[48:49], s[28:29], v[108:109] neg_lo:[1,0,0] neg_hi:[1,0,0]
	v_pk_add_f32 v[44:45], v[110:111], v[44:45]
	v_mov_b32_e32 v52, v50
	v_pk_add_f32 v[44:45], v[52:53], v[44:45]
	v_pk_fma_f32 v[52:53], v[48:49], s[28:29], v[108:109] neg_lo:[0,0,1] neg_hi:[0,0,1]
	v_pk_mul_f32 v[56:57], v[84:85], s[18:19]
	v_mov_b32_e32 v53, v51
	v_pk_mul_f32 v[50:51], v[90:91], s[26:27]
	v_pk_add_f32 v[46:47], v[52:53], v[46:47]
	v_pk_fma_f32 v[52:53], v[102:103], s[20:21], v[50:51] neg_lo:[1,0,0] neg_hi:[1,0,0]
	v_pk_fma_f32 v[54:55], v[102:103], s[20:21], v[50:51]
	v_pk_fma_f32 v[58:59], v[88:89], s[6:7], v[56:57] neg_lo:[1,0,0] neg_hi:[1,0,0]
	v_mov_b32_e32 v53, v55
	v_pk_fma_f32 v[60:61], v[40:41], s[6:7], v[56:57]
	v_pk_add_f32 v[52:53], v[38:39], v[52:53]
	v_mov_b32_e32 v59, v61
	v_pk_add_f32 v[52:53], v[58:59], v[52:53]
	v_pk_mul_f32 v[58:59], v[86:87], s[28:29]
	s_mov_b32 s42, 0x3f29c268
	v_pk_fma_f32 v[62:63], v[94:95], s[22:23], v[58:59] op_sel:[1,0,0] neg_lo:[1,0,0] neg_hi:[1,0,0]
	v_pk_fma_f32 v[64:65], v[68:69], s[22:23], v[58:59]
	s_mov_b32 s44, s15
	v_mov_b32_e32 v63, v65
	s_mov_b32 s45, s42
	v_pk_add_f32 v[52:53], v[62:63], v[52:53]
	s_mov_b32 s43, s15
	v_pk_mul_f32 v[62:63], v[92:93], s[44:45]
	s_mov_b32 s34, 0x3f7e222b
	v_pk_fma_f32 v[108:109], v[98:99], s[42:43], v[62:63] neg_lo:[1,0,0] neg_hi:[1,0,0]
	v_pk_fma_f32 v[110:111], v[80:81], s[42:43], v[62:63]
	v_pk_fma_f32 v[50:51], v[102:103], s[20:21], v[50:51] neg_lo:[0,0,1] neg_hi:[0,0,1]
	v_mov_b32_e32 v109, v111
	s_mov_b32 s30, s37
	s_mov_b32 s31, s34
	v_mov_b32_e32 v55, v51
	v_pk_add_f32 v[52:53], v[108:109], v[52:53]
	s_mov_b32 s35, s37
	v_pk_mul_f32 v[108:109], v[96:97], s[30:31]
	v_pk_add_f32 v[50:51], v[38:39], v[54:55]
	v_pk_fma_f32 v[54:55], v[40:41], s[6:7], v[56:57] neg_lo:[0,0,1] neg_hi:[0,0,1]
	v_pk_fma_f32 v[112:113], v[100:101], s[34:35], v[108:109] neg_lo:[1,0,0] neg_hi:[1,0,0]
	v_pk_fma_f32 v[114:115], v[82:83], s[34:35], v[108:109]
	v_mov_b32_e32 v61, v55
	v_pk_fma_f32 v[54:55], v[68:69], s[22:23], v[58:59] neg_lo:[0,0,1] neg_hi:[0,0,1]
	v_mov_b32_e32 v113, v115
	s_mov_b32 s0, 0x3eedf032
	v_pk_add_f32 v[50:51], v[60:61], v[50:51]
	v_mov_b32_e32 v65, v55
	v_pk_fma_f32 v[54:55], v[80:81], s[42:43], v[62:63] neg_lo:[0,0,1] neg_hi:[0,0,1]
	v_pk_add_f32 v[52:53], v[112:113], v[52:53]
	v_pk_mul_f32 v[112:113], v[66:67], s[0:1]
	s_mov_b32 s38, s1
	s_mov_b32 s39, s0
	v_pk_add_f32 v[50:51], v[64:65], v[50:51]
	v_mov_b32_e32 v111, v55
	v_pk_fma_f32 v[54:55], v[82:83], s[34:35], v[108:109] neg_lo:[0,0,1] neg_hi:[0,0,1]
	v_pk_add_f32 v[50:51], v[110:111], v[50:51]
	v_mov_b32_e32 v115, v55
	v_pk_fma_f32 v[54:55], v[48:49], s[38:39], v[112:113]
	v_pk_fma_f32 v[56:57], v[48:49], s[38:39], v[112:113] neg_lo:[1,0,0] neg_hi:[1,0,0]
	v_pk_add_f32 v[50:51], v[114:115], v[50:51]
	v_mov_b32_e32 v56, v54
	v_pk_add_f32 v[50:51], v[56:57], v[50:51]
	v_pk_fma_f32 v[56:57], v[48:49], s[38:39], v[112:113] neg_lo:[0,0,1] neg_hi:[0,0,1]
	v_pk_mul_f32 v[60:61], v[84:85], s[28:29]
	v_mov_b32_e32 v57, v55
	v_pk_add_f32 v[56:57], v[56:57], v[52:53]
	v_pk_mul_f32 v[52:53], v[90:91], s[40:41]
	v_pk_fma_f32 v[62:63], v[88:89], s[22:23], v[60:61] neg_lo:[1,0,0] neg_hi:[1,0,0]
	v_pk_fma_f32 v[54:55], v[102:103], s[36:37], v[52:53] neg_lo:[1,0,0] neg_hi:[1,0,0]
	v_pk_fma_f32 v[58:59], v[102:103], s[36:37], v[52:53]
	v_pk_fma_f32 v[64:65], v[40:41], s[22:23], v[60:61]
	v_mov_b32_e32 v55, v59
	s_mov_b32 s46, 0x3f6f5d39
	v_pk_add_f32 v[54:55], v[38:39], v[54:55]
	v_mov_b32_e32 v63, v65
	s_mov_b32 s48, s7
	s_mov_b32 s49, s46
	v_pk_add_f32 v[54:55], v[62:63], v[54:55]
	s_mov_b32 s47, s7
	v_pk_mul_f32 v[62:63], v[86:87], s[48:49]
	v_pk_fma_f32 v[52:53], v[102:103], s[36:37], v[52:53] neg_lo:[0,0,1] neg_hi:[0,0,1]
	v_pk_fma_f32 v[108:109], v[94:95], s[46:47], v[62:63] op_sel:[1,0,0] neg_lo:[1,0,0] neg_hi:[1,0,0]
	v_pk_fma_f32 v[110:111], v[68:69], s[46:47], v[62:63]
	v_mov_b32_e32 v59, v53
	v_mov_b32_e32 v109, v111
	v_pk_add_f32 v[54:55], v[108:109], v[54:55]
	v_pk_mul_f32 v[108:109], v[92:93], s[38:39]
	v_pk_add_f32 v[52:53], v[38:39], v[58:59]
	v_pk_fma_f32 v[112:113], v[98:99], s[0:1], v[108:109] neg_lo:[1,0,0] neg_hi:[1,0,0]
	v_pk_fma_f32 v[114:115], v[80:81], s[0:1], v[108:109]
	v_pk_fma_f32 v[58:59], v[40:41], s[22:23], v[60:61] neg_lo:[0,0,1] neg_hi:[0,0,1]
	v_mov_b32_e32 v113, v115
	v_pk_add_f32 v[54:55], v[112:113], v[54:55]
	v_pk_mul_f32 v[112:113], v[96:97], s[26:27]
	v_mov_b32_e32 v65, v59
	v_pk_fma_f32 v[116:117], v[100:101], s[20:21], v[112:113] neg_lo:[1,0,0] neg_hi:[1,0,0]
	v_pk_fma_f32 v[118:119], v[82:83], s[20:21], v[112:113]
	v_pk_fma_f32 v[58:59], v[68:69], s[46:47], v[62:63] neg_lo:[0,0,1] neg_hi:[0,0,1]
	v_mov_b32_e32 v117, v119
	v_pk_add_f32 v[52:53], v[64:65], v[52:53]
	v_mov_b32_e32 v111, v59
	v_pk_fma_f32 v[58:59], v[80:81], s[0:1], v[108:109] neg_lo:[0,0,1] neg_hi:[0,0,1]
	v_pk_add_f32 v[54:55], v[116:117], v[54:55]
	v_pk_mul_f32 v[116:117], v[66:67], s[14:15]
	v_pk_add_f32 v[52:53], v[110:111], v[52:53]
	v_mov_b32_e32 v115, v59
	v_pk_fma_f32 v[58:59], v[82:83], s[20:21], v[112:113] neg_lo:[0,0,1] neg_hi:[0,0,1]
	v_pk_add_f32 v[52:53], v[114:115], v[52:53]
	v_mov_b32_e32 v119, v59
	v_pk_fma_f32 v[58:59], v[48:49], s[24:25], v[116:117]
	v_pk_fma_f32 v[60:61], v[48:49], s[24:25], v[116:117] neg_lo:[1,0,0] neg_hi:[1,0,0]
	v_pk_add_f32 v[52:53], v[118:119], v[52:53]
	v_mov_b32_e32 v60, v58
	v_pk_add_f32 v[52:53], v[60:61], v[52:53]
	v_pk_fma_f32 v[60:61], v[48:49], s[24:25], v[116:117] neg_lo:[0,0,1] neg_hi:[0,0,1]
	v_pk_mul_f32 v[64:65], v[84:85], s[44:45]
	v_mov_b32_e32 v61, v59
	v_pk_mul_f32 v[58:59], v[90:91], s[18:19]
	v_pk_add_f32 v[54:55], v[60:61], v[54:55]
	v_pk_fma_f32 v[60:61], v[102:103], s[6:7], v[58:59] neg_lo:[1,0,0] neg_hi:[1,0,0]
	v_pk_fma_f32 v[62:63], v[102:103], s[6:7], v[58:59]
	v_pk_fma_f32 v[108:109], v[88:89], s[42:43], v[64:65] neg_lo:[1,0,0] neg_hi:[1,0,0]
	v_mov_b32_e32 v61, v63
	v_pk_fma_f32 v[110:111], v[40:41], s[42:43], v[64:65]
	v_pk_add_f32 v[60:61], v[38:39], v[60:61]
	v_mov_b32_e32 v109, v111
	v_pk_add_f32 v[60:61], v[108:109], v[60:61]
	v_pk_mul_f32 v[108:109], v[86:87], s[38:39]
	s_mov_b32 s46, 0x3e750f2a
	v_pk_fma_f32 v[112:113], v[94:95], s[0:1], v[108:109] op_sel:[1,0,0] neg_lo:[1,0,0] neg_hi:[1,0,0]
	v_pk_fma_f32 v[114:115], v[68:69], s[0:1], v[108:109]
	v_pk_fma_f32 v[58:59], v[102:103], s[6:7], v[58:59] neg_lo:[0,0,1] neg_hi:[0,0,1]
	v_mov_b32_e32 v113, v115
	v_pk_add_f32 v[60:61], v[112:113], v[60:61]
	v_pk_mul_f32 v[112:113], v[92:93], s[40:41]
	s_mov_b32 s48, s23
	v_pk_fma_f32 v[116:117], v[98:99], s[36:37], v[112:113] neg_lo:[1,0,0] neg_hi:[1,0,0]
	v_pk_fma_f32 v[118:119], v[80:81], s[36:37], v[112:113]
	s_mov_b32 s49, s46
	v_mov_b32_e32 v117, v119
	v_mov_b32_e32 v63, v59
	v_pk_add_f32 v[60:61], v[116:117], v[60:61]
	s_mov_b32 s47, s23
	v_pk_mul_f32 v[116:117], v[96:97], s[48:49]
	v_pk_add_f32 v[58:59], v[38:39], v[62:63]
	v_pk_fma_f32 v[62:63], v[40:41], s[42:43], v[64:65] neg_lo:[0,0,1] neg_hi:[0,0,1]
	v_pk_fma_f32 v[120:121], v[100:101], s[46:47], v[116:117] neg_lo:[1,0,0] neg_hi:[1,0,0]
	v_pk_fma_f32 v[122:123], v[82:83], s[46:47], v[116:117]
	v_mov_b32_e32 v111, v63
	v_pk_fma_f32 v[62:63], v[68:69], s[0:1], v[108:109] neg_lo:[0,0,1] neg_hi:[0,0,1]
	v_mov_b32_e32 v121, v123
	s_mov_b32 s40, 0x3f52af12
	s_mov_b32 s41, s21
	v_pk_add_f32 v[58:59], v[110:111], v[58:59]
	v_mov_b32_e32 v115, v63
	v_pk_fma_f32 v[62:63], v[80:81], s[36:37], v[112:113] neg_lo:[0,0,1] neg_hi:[0,0,1]
	v_pk_add_f32 v[60:61], v[120:121], v[60:61]
	v_pk_mul_f32 v[120:121], v[66:67], s[40:41]
	s_mov_b32 s44, s21
	s_mov_b32 s45, s40
	v_pk_add_f32 v[58:59], v[114:115], v[58:59]
	v_mov_b32_e32 v119, v63
	v_pk_fma_f32 v[62:63], v[82:83], s[46:47], v[116:117] neg_lo:[0,0,1] neg_hi:[0,0,1]
	v_pk_add_f32 v[58:59], v[118:119], v[58:59]
	v_mov_b32_e32 v123, v63
	v_pk_fma_f32 v[62:63], v[48:49], s[44:45], v[120:121]
	v_pk_fma_f32 v[64:65], v[48:49], s[44:45], v[120:121] neg_lo:[1,0,0] neg_hi:[1,0,0]
	v_pk_add_f32 v[58:59], v[122:123], v[58:59]
	v_mov_b32_e32 v64, v62
	v_pk_add_f32 v[58:59], v[64:65], v[58:59]
	v_pk_fma_f32 v[64:65], v[48:49], s[44:45], v[120:121] neg_lo:[0,0,1] neg_hi:[0,0,1]
	v_pk_mul_f32 v[110:111], v[84:85], s[30:31]
	v_mov_b32_e32 v65, v63
	v_pk_add_f32 v[64:65], v[64:65], v[60:61]
	v_pk_mul_f32 v[60:61], v[90:91], s[24:25]
	v_pk_fma_f32 v[112:113], v[88:89], s[34:35], v[110:111] neg_lo:[1,0,0] neg_hi:[1,0,0]
	v_pk_fma_f32 v[62:63], v[102:103], s[14:15], v[60:61] neg_lo:[1,0,0] neg_hi:[1,0,0]
	v_pk_fma_f32 v[108:109], v[102:103], s[14:15], v[60:61]
	v_pk_fma_f32 v[114:115], v[40:41], s[34:35], v[110:111]
	v_mov_b32_e32 v63, v109
	v_pk_add_f32 v[62:63], v[38:39], v[62:63]
	v_mov_b32_e32 v113, v115
	v_pk_add_f32 v[62:63], v[112:113], v[62:63]
	v_pk_mul_f32 v[112:113], v[86:87], s[26:27]
	v_pk_fma_f32 v[60:61], v[102:103], s[14:15], v[60:61] neg_lo:[0,0,1] neg_hi:[0,0,1]
	v_pk_fma_f32 v[116:117], v[94:95], s[20:21], v[112:113] op_sel:[1,0,0] neg_lo:[1,0,0] neg_hi:[1,0,0]
	v_pk_fma_f32 v[118:119], v[68:69], s[20:21], v[112:113]
	v_mov_b32_e32 v109, v61
	v_mov_b32_e32 v117, v119
	v_pk_add_f32 v[62:63], v[116:117], v[62:63]
	v_pk_mul_f32 v[116:117], v[92:93], s[48:49]
	v_pk_add_f32 v[60:61], v[38:39], v[108:109]
	v_pk_fma_f32 v[120:121], v[98:99], s[46:47], v[116:117] neg_lo:[1,0,0] neg_hi:[1,0,0]
	v_pk_fma_f32 v[122:123], v[80:81], s[46:47], v[116:117]
	v_pk_fma_f32 v[108:109], v[40:41], s[34:35], v[110:111] neg_lo:[0,0,1] neg_hi:[0,0,1]
	v_mov_b32_e32 v121, v123
	v_pk_add_f32 v[62:63], v[120:121], v[62:63]
	v_pk_mul_f32 v[120:121], v[96:97], s[38:39]
	v_mov_b32_e32 v115, v109
	v_pk_fma_f32 v[124:125], v[100:101], s[0:1], v[120:121] neg_lo:[1,0,0] neg_hi:[1,0,0]
	v_pk_fma_f32 v[126:127], v[82:83], s[0:1], v[120:121]
	v_pk_fma_f32 v[108:109], v[68:69], s[20:21], v[112:113] neg_lo:[0,0,1] neg_hi:[0,0,1]
	v_mov_b32_e32 v125, v127
	v_pk_add_f32 v[60:61], v[114:115], v[60:61]
	v_mov_b32_e32 v119, v109
	v_pk_fma_f32 v[108:109], v[80:81], s[46:47], v[116:117] neg_lo:[0,0,1] neg_hi:[0,0,1]
	v_pk_add_f32 v[62:63], v[124:125], v[62:63]
	v_pk_mul_f32 v[124:125], v[66:67], s[6:7]
	v_pk_add_f32 v[60:61], v[118:119], v[60:61]
	v_mov_b32_e32 v123, v109
	v_pk_fma_f32 v[108:109], v[82:83], s[0:1], v[120:121] neg_lo:[0,0,1] neg_hi:[0,0,1]
	v_pk_add_f32 v[60:61], v[122:123], v[60:61]
	v_mov_b32_e32 v127, v109
	v_pk_fma_f32 v[108:109], v[48:49], s[18:19], v[124:125]
	v_pk_fma_f32 v[110:111], v[48:49], s[18:19], v[124:125] neg_lo:[1,0,0] neg_hi:[1,0,0]
	v_pk_add_f32 v[60:61], v[126:127], v[60:61]
	v_mov_b32_e32 v110, v108
	v_pk_add_f32 v[60:61], v[110:111], v[60:61]
	v_pk_fma_f32 v[110:111], v[48:49], s[18:19], v[124:125] neg_lo:[0,0,1] neg_hi:[0,0,1]
	v_pk_mul_f32 v[90:91], v[90:91], s[28:29]
	v_mov_b32_e32 v111, v109
	v_pk_add_f32 v[62:63], v[110:111], v[62:63]
	v_pk_fma_f32 v[108:109], v[102:103], s[22:23], v[90:91] neg_lo:[1,0,0] neg_hi:[1,0,0]
	v_pk_fma_f32 v[110:111], v[102:103], s[22:23], v[90:91]
	v_pk_mul_f32 v[84:85], v[84:85], s[38:39]
	v_mov_b32_e32 v109, v111
	v_pk_fma_f32 v[88:89], v[88:89], s[0:1], v[84:85] neg_lo:[1,0,0] neg_hi:[1,0,0]
	v_pk_fma_f32 v[112:113], v[40:41], s[0:1], v[84:85]
	v_pk_add_f32 v[108:109], v[38:39], v[108:109]
	v_mov_b32_e32 v89, v113
	v_pk_mul_f32 v[86:87], v[86:87], s[24:25]
	v_pk_add_f32 v[88:89], v[88:89], v[108:109]
	v_pk_fma_f32 v[94:95], v[94:95], s[14:15], v[86:87] op_sel:[1,0,0] neg_lo:[1,0,0] neg_hi:[1,0,0]
	v_pk_fma_f32 v[108:109], v[68:69], s[14:15], v[86:87]
	v_pk_mul_f32 v[92:93], v[92:93], s[44:45]
	v_mov_b32_e32 v95, v109
	v_pk_add_f32 v[88:89], v[94:95], v[88:89]
	v_pk_fma_f32 v[94:95], v[98:99], s[40:41], v[92:93] neg_lo:[1,0,0] neg_hi:[1,0,0]
	v_pk_fma_f32 v[98:99], v[80:81], s[40:41], v[92:93]
	v_pk_fma_f32 v[40:41], v[40:41], s[0:1], v[84:85] neg_lo:[0,0,1] neg_hi:[0,0,1]
	v_mov_b32_e32 v95, v99
	v_pk_add_f32 v[88:89], v[94:95], v[88:89]
	v_pk_mul_f32 v[94:95], v[96:97], s[18:19]
	v_mov_b32_e32 v113, v41
	v_pk_fma_f32 v[96:97], v[100:101], s[6:7], v[94:95] neg_lo:[1,0,0] neg_hi:[1,0,0]
	v_pk_fma_f32 v[100:101], v[82:83], s[6:7], v[94:95]
	v_pk_fma_f32 v[40:41], v[68:69], s[14:15], v[86:87] neg_lo:[0,0,1] neg_hi:[0,0,1]
	v_mov_b32_e32 v97, v101
	v_pk_add_f32 v[88:89], v[96:97], v[88:89]
	v_pk_mul_f32 v[96:97], v[66:67], s[34:35]
	v_pk_fma_f32 v[66:67], v[102:103], s[22:23], v[90:91] neg_lo:[0,0,1] neg_hi:[0,0,1]
	v_mov_b32_e32 v109, v41
	v_mov_b32_e32 v111, v67
	v_pk_add_f32 v[38:39], v[38:39], v[110:111]
	v_pk_fma_f32 v[40:41], v[80:81], s[40:41], v[92:93] neg_lo:[0,0,1] neg_hi:[0,0,1]
	v_pk_add_f32 v[38:39], v[112:113], v[38:39]
	v_mov_b32_e32 v99, v41
	v_pk_add_f32 v[38:39], v[108:109], v[38:39]
	v_pk_fma_f32 v[40:41], v[82:83], s[6:7], v[94:95] neg_lo:[0,0,1] neg_hi:[0,0,1]
	v_pk_add_f32 v[38:39], v[98:99], v[38:39]
	v_mov_b32_e32 v101, v41
	v_pk_fma_f32 v[40:41], v[48:49], s[30:31], v[96:97]
	v_pk_fma_f32 v[66:67], v[48:49], s[30:31], v[96:97] neg_lo:[1,0,0] neg_hi:[1,0,0]
	v_pk_add_f32 v[38:39], v[100:101], v[38:39]
	v_mov_b32_e32 v66, v40
	v_pk_add_f32 v[66:67], v[66:67], v[38:39]
	v_pk_fma_f32 v[38:39], v[48:49], s[30:31], v[96:97] neg_lo:[0,0,1] neg_hi:[0,0,1]
	s_nop 0
	v_mov_b32_e32 v39, v41
	v_pk_add_f32 v[68:69], v[38:39], v[88:89]
	s_barrier
	s_and_saveexec_b64 s[0:1], vcc
	s_cbranch_execz .LBB0_19
; %bb.18:
	v_lshlrev_b32_e32 v38, 3, v104
	ds_write2_b64 v38, v[42:43], v[44:45] offset1:1
	ds_write2_b64 v38, v[50:51], v[52:53] offset0:2 offset1:3
	ds_write2_b64 v38, v[58:59], v[60:61] offset0:4 offset1:5
	;; [unrolled: 1-line block ×5, first 2 shown]
	ds_write_b64 v38, v[46:47] offset:96
.LBB0_19:
	s_or_b64 exec, exec, s[0:1]
	s_waitcnt lgkmcnt(0)
	s_barrier
	s_and_saveexec_b64 s[0:1], s[4:5]
	s_xor_b64 s[0:1], exec, s[0:1]
	s_andn2_saveexec_b64 s[0:1], s[0:1]
	s_cbranch_execz .LBB0_21
; %bb.20:
	v_add_u32_e32 v36, 0x800, v70
	v_add_u32_e32 v40, 0x1800, v70
	ds_read2_b64 v[42:45], v70 offset1:65
	ds_read2_b64 v[50:53], v70 offset0:130 offset1:195
	ds_read2_b64 v[58:61], v36 offset0:4 offset1:69
	;; [unrolled: 1-line block ×4, first 2 shown]
	v_add_u32_e32 v41, 0x1000, v70
	ds_read2_b64 v[46:49], v40 offset0:12 offset1:77
	ds_read2_b64 v[62:65], v41 offset0:8 offset1:73
	;; [unrolled: 1-line block ×3, first 2 shown]
	s_waitcnt lgkmcnt(3)
	v_mov_b32_e32 v78, v39
	v_mov_b32_e32 v79, v37
	s_waitcnt lgkmcnt(2)
	v_mov_b32_e32 v76, v49
	v_mov_b32_e32 v77, v38
	;; [unrolled: 1-line block ×3, first 2 shown]
.LBB0_21:
	s_or_b64 exec, exec, s[0:1]
	v_mov_b32_e32 v40, v28
	v_mov_b32_e32 v41, v28
	;; [unrolled: 1-line block ×12, first 2 shown]
	s_waitcnt lgkmcnt(0)
	s_barrier
	s_and_saveexec_b64 s[0:1], s[2:3]
	s_cbranch_execz .LBB0_23
; %bb.22:
	v_pk_mul_f32 v[86:87], v[6:7], v[66:67] op_sel:[0,1]
	v_pk_mul_f32 v[88:89], v[22:23], v[78:79] op_sel:[0,1]
	v_mul_u32_u24_e32 v71, 0xd0, v105
	v_pk_fma_f32 v[104:105], v[6:7], v[66:67], v[86:87] op_sel:[0,0,1] op_sel_hi:[1,1,0]
	v_pk_fma_f32 v[6:7], v[6:7], v[66:67], v[86:87] op_sel:[0,0,1] op_sel_hi:[1,0,0] neg_lo:[1,0,0] neg_hi:[1,0,0]
	v_pk_mul_f32 v[82:83], v[2:3], v[50:51] op_sel:[0,1]
	v_mov_b32_e32 v105, v7
	v_pk_fma_f32 v[6:7], v[22:23], v[36:37], v[88:89] op_sel:[0,0,1] op_sel_hi:[1,1,0]
	v_pk_fma_f32 v[22:23], v[22:23], v[36:37], v[88:89] op_sel:[0,0,1] op_sel_hi:[1,0,0] neg_lo:[1,0,0] neg_hi:[1,0,0]
	v_pk_mul_f32 v[84:85], v[18:19], v[54:55] op_sel:[0,1]
	v_mov_b32_e32 v7, v23
	v_pk_fma_f32 v[22:23], v[2:3], v[50:51], v[82:83] op_sel:[0,0,1] op_sel_hi:[1,1,0]
	v_pk_fma_f32 v[2:3], v[2:3], v[50:51], v[82:83] op_sel:[0,0,1] op_sel_hi:[1,0,0] neg_lo:[1,0,0] neg_hi:[1,0,0]
	v_pk_mul_f32 v[92:93], v[10:11], v[58:59] op_sel:[0,1]
	v_mov_b32_e32 v23, v3
	v_pk_fma_f32 v[2:3], v[18:19], v[54:55], v[84:85] op_sel:[0,0,1] op_sel_hi:[1,1,0]
	v_pk_fma_f32 v[18:19], v[18:19], v[54:55], v[84:85] op_sel:[0,0,1] op_sel_hi:[1,0,0] neg_lo:[1,0,0] neg_hi:[1,0,0]
	v_pk_mul_f32 v[94:95], v[26:27], v[46:47] op_sel:[0,1]
	v_mov_b32_e32 v3, v19
	v_pk_fma_f32 v[18:19], v[10:11], v[58:59], v[92:93] op_sel:[0,0,1] op_sel_hi:[1,1,0]
	v_pk_fma_f32 v[10:11], v[10:11], v[58:59], v[92:93] op_sel:[0,0,1] op_sel_hi:[1,0,0] neg_lo:[1,0,0] neg_hi:[1,0,0]
	v_pk_mul_f32 v[90:91], v[14:15], v[62:63] op_sel:[0,1]
	v_mov_b32_e32 v19, v11
	v_pk_fma_f32 v[10:11], v[26:27], v[46:47], v[94:95] op_sel:[0,0,1] op_sel_hi:[1,1,0]
	v_pk_fma_f32 v[26:27], v[26:27], v[46:47], v[94:95] op_sel:[0,0,1] op_sel_hi:[1,0,0] neg_lo:[1,0,0] neg_hi:[1,0,0]
	v_pk_mul_f32 v[100:101], v[12:13], v[68:69] op_sel:[0,1]
	v_mov_b32_e32 v11, v27
	v_pk_fma_f32 v[26:27], v[14:15], v[62:63], v[90:91] op_sel:[0,0,1] op_sel_hi:[1,1,0]
	v_pk_fma_f32 v[14:15], v[14:15], v[62:63], v[90:91] op_sel:[0,0,1] op_sel_hi:[1,0,0] neg_lo:[1,0,0] neg_hi:[1,0,0]
	v_pk_mul_f32 v[78:79], v[74:75], v[78:79] op_sel_hi:[1,0]
	v_mov_b32_e32 v27, v15
	v_pk_add_f32 v[14:15], v[42:43], v[26:27] neg_lo:[0,1] neg_hi:[0,1]
	v_pk_fma_f32 v[26:27], v[12:13], v[68:69], v[100:101] op_sel:[0,0,1] op_sel_hi:[1,1,0]
	v_pk_fma_f32 v[12:13], v[12:13], v[68:69], v[100:101] op_sel:[0,0,1] op_sel_hi:[1,0,0] neg_lo:[1,0,0] neg_hi:[1,0,0]
	v_pk_mul_f32 v[96:97], v[8:9], v[52:53] op_sel:[0,1]
	v_mov_b32_e32 v27, v13
	v_pk_fma_f32 v[12:13], v[74:75], v[76:77], v[78:79] op_sel:[0,1,1] op_sel_hi:[1,1,0]
	v_pk_fma_f32 v[46:47], v[74:75], v[76:77], v[78:79] op_sel:[0,1,1] op_sel_hi:[1,1,0] neg_lo:[1,0,0] neg_hi:[1,0,0]
	v_pk_mul_f32 v[98:99], v[24:25], v[56:57] op_sel:[0,1]
	v_mov_b32_e32 v13, v47
	;; [unrolled: 4-line block ×3, first 2 shown]
	v_pk_fma_f32 v[8:9], v[24:25], v[56:57], v[98:99] op_sel:[0,0,1] op_sel_hi:[1,1,0]
	v_pk_fma_f32 v[24:25], v[24:25], v[56:57], v[98:99] op_sel:[0,0,1] op_sel_hi:[1,0,0] neg_lo:[1,0,0] neg_hi:[1,0,0]
	v_pk_mul_f32 v[112:113], v[20:21], v[76:77] op_sel_hi:[1,0]
	v_mov_b32_e32 v9, v25
	v_pk_fma_f32 v[24:25], v[4:5], v[60:61], v[110:111] op_sel:[0,0,1] op_sel_hi:[1,1,0]
	v_pk_fma_f32 v[4:5], v[4:5], v[60:61], v[110:111] op_sel:[0,0,1] op_sel_hi:[1,0,0] neg_lo:[1,0,0] neg_hi:[1,0,0]
	v_pk_mul_f32 v[102:103], v[0:1], v[44:45] op_sel:[0,1]
	v_mov_b32_e32 v25, v5
	v_pk_fma_f32 v[4:5], v[20:21], v[36:37], v[112:113] op_sel:[0,1,1] op_sel_hi:[1,1,0]
	v_pk_fma_f32 v[20:21], v[20:21], v[36:37], v[112:113] op_sel:[0,1,1] op_sel_hi:[1,1,0] neg_lo:[1,0,0] neg_hi:[1,0,0]
	v_pk_mul_f32 v[108:109], v[16:17], v[64:65] op_sel:[0,1]
	v_mov_b32_e32 v5, v21
	v_pk_fma_f32 v[20:21], v[0:1], v[44:45], v[102:103] op_sel:[0,0,1] op_sel_hi:[1,1,0]
	v_pk_fma_f32 v[0:1], v[0:1], v[44:45], v[102:103] op_sel:[0,0,1] op_sel_hi:[1,0,0] neg_lo:[1,0,0] neg_hi:[1,0,0]
	v_pk_add_f32 v[6:7], v[104:105], v[6:7] neg_lo:[0,1] neg_hi:[0,1]
	v_pk_add_f32 v[2:3], v[22:23], v[2:3] neg_lo:[0,1] neg_hi:[0,1]
	v_mov_b32_e32 v21, v1
	v_pk_fma_f32 v[0:1], v[16:17], v[64:65], v[108:109] op_sel:[0,0,1] op_sel_hi:[1,1,0]
	v_pk_fma_f32 v[16:17], v[16:17], v[64:65], v[108:109] op_sel:[0,0,1] op_sel_hi:[1,0,0] neg_lo:[1,0,0] neg_hi:[1,0,0]
	v_pk_add_f32 v[10:11], v[18:19], v[10:11] neg_lo:[0,1] neg_hi:[0,1]
	v_mov_b32_e32 v1, v17
	v_pk_fma_f32 v[16:17], v[22:23], 2.0, v[2:3] op_sel_hi:[1,0,1] neg_lo:[0,0,1] neg_hi:[0,0,1]
	v_pk_fma_f32 v[22:23], v[104:105], 2.0, v[6:7] op_sel_hi:[1,0,1] neg_lo:[0,0,1] neg_hi:[0,0,1]
	v_pk_add_f32 v[44:45], v[2:3], v[6:7] op_sel:[0,1] op_sel_hi:[1,0]
	v_pk_add_f32 v[6:7], v[2:3], v[6:7] op_sel:[0,1] op_sel_hi:[1,0] neg_lo:[0,1] neg_hi:[0,1]
	v_pk_add_f32 v[12:13], v[26:27], v[12:13] neg_lo:[0,1] neg_hi:[0,1]
	v_pk_add_f32 v[8:9], v[46:47], v[8:9] neg_lo:[0,1] neg_hi:[0,1]
	v_pk_fma_f32 v[18:19], v[18:19], 2.0, v[10:11] op_sel_hi:[1,0,1] neg_lo:[0,0,1] neg_hi:[0,0,1]
	v_mov_b32_e32 v45, v7
	v_pk_add_f32 v[6:7], v[14:15], v[10:11] op_sel:[0,1] op_sel_hi:[1,0]
	v_pk_add_f32 v[10:11], v[14:15], v[10:11] op_sel:[0,1] op_sel_hi:[1,0] neg_lo:[0,1] neg_hi:[0,1]
	v_pk_add_f32 v[4:5], v[24:25], v[4:5] neg_lo:[0,1] neg_hi:[0,1]
	v_pk_add_f32 v[0:1], v[20:21], v[0:1] neg_lo:[0,1] neg_hi:[0,1]
	v_pk_fma_f32 v[26:27], v[26:27], 2.0, v[12:13] op_sel_hi:[1,0,1] neg_lo:[0,0,1] neg_hi:[0,0,1]
	v_mov_b32_e32 v7, v11
	v_pk_add_f32 v[10:11], v[8:9], v[12:13] op_sel:[0,1] op_sel_hi:[1,0]
	v_pk_add_f32 v[12:13], v[8:9], v[12:13] op_sel:[0,1] op_sel_hi:[1,0] neg_lo:[0,1] neg_hi:[0,1]
	v_pk_fma_f32 v[36:37], v[42:43], 2.0, v[14:15] op_sel_hi:[1,0,1] neg_lo:[0,0,1] neg_hi:[0,0,1]
	v_pk_fma_f32 v[24:25], v[24:25], 2.0, v[4:5] op_sel_hi:[1,0,1] neg_lo:[0,0,1] neg_hi:[0,0,1]
	v_mov_b32_e32 v11, v13
	v_pk_add_f32 v[12:13], v[0:1], v[4:5] op_sel:[0,1] op_sel_hi:[1,0]
	v_pk_add_f32 v[4:5], v[0:1], v[4:5] op_sel:[0,1] op_sel_hi:[1,0] neg_lo:[0,1] neg_hi:[0,1]
	v_pk_fma_f32 v[2:3], v[2:3], 2.0, v[44:45] op_sel_hi:[1,0,1] neg_lo:[0,0,1] neg_hi:[0,0,1]
	s_mov_b32 s2, 0x3f3504f3
	v_pk_fma_f32 v[14:15], v[14:15], 2.0, v[6:7] op_sel_hi:[1,0,1] neg_lo:[0,0,1] neg_hi:[0,0,1]
	v_mov_b32_e32 v13, v5
	v_pk_mul_f32 v[4:5], v[2:3], s[2:3] op_sel_hi:[1,0]
	v_pk_fma_f32 v[2:3], v[2:3], s[2:3], v[14:15] op_sel_hi:[1,0,1] neg_lo:[1,0,0] neg_hi:[1,0,0]
	v_pk_fma_f32 v[42:43], v[46:47], 2.0, v[8:9] op_sel_hi:[1,0,1] neg_lo:[0,0,1] neg_hi:[0,0,1]
	v_pk_fma_f32 v[20:21], v[20:21], 2.0, v[0:1] op_sel_hi:[1,0,1] neg_lo:[0,0,1] neg_hi:[0,0,1]
	v_pk_add_f32 v[46:47], v[2:3], v[4:5] op_sel:[0,1] op_sel_hi:[1,0]
	v_pk_add_f32 v[2:3], v[2:3], v[4:5] op_sel:[0,1] op_sel_hi:[1,0] neg_lo:[0,1] neg_hi:[0,1]
	v_pk_fma_f32 v[4:5], v[8:9], 2.0, v[10:11] op_sel_hi:[1,0,1] neg_lo:[0,0,1] neg_hi:[0,0,1]
	v_pk_fma_f32 v[0:1], v[0:1], 2.0, v[12:13] op_sel_hi:[1,0,1] neg_lo:[0,0,1] neg_hi:[0,0,1]
	v_pk_mul_f32 v[8:9], v[4:5], s[2:3] op_sel_hi:[1,0]
	v_pk_fma_f32 v[4:5], v[4:5], s[2:3], v[0:1] op_sel_hi:[1,0,1] neg_lo:[1,0,0] neg_hi:[1,0,0]
	v_pk_add_f32 v[22:23], v[16:17], v[22:23] neg_lo:[0,1] neg_hi:[0,1]
	v_pk_add_f32 v[50:51], v[4:5], v[8:9] op_sel:[0,1] op_sel_hi:[1,0]
	v_pk_add_f32 v[4:5], v[4:5], v[8:9] op_sel:[0,1] op_sel_hi:[1,0] neg_lo:[0,1] neg_hi:[0,1]
	v_pk_add_f32 v[18:19], v[36:37], v[18:19] neg_lo:[0,1] neg_hi:[0,1]
	v_pk_add_f32 v[26:27], v[42:43], v[26:27] neg_lo:[0,1] neg_hi:[0,1]
	;; [unrolled: 1-line block ×3, first 2 shown]
	v_mov_b32_e32 v47, v3
	v_mov_b32_e32 v51, v5
	v_fmamk_f32 v8, v50, 0x3ec3ef15, v46
	v_pk_fma_f32 v[36:37], v[36:37], 2.0, v[18:19] op_sel_hi:[1,0,1] neg_lo:[0,0,1] neg_hi:[0,0,1]
	v_pk_fma_f32 v[16:17], v[16:17], 2.0, v[22:23] op_sel_hi:[1,0,1] neg_lo:[0,0,1] neg_hi:[0,0,1]
	;; [unrolled: 1-line block ×4, first 2 shown]
	s_mov_b32 s4, 0x3ec3ef15
	v_fmamk_f32 v2, v5, 0x3ec3ef15, v3
	s_mov_b32 s6, 0x3f6c835e
	v_fmac_f32_e32 v8, 0x3f6c835e, v5
	v_pk_fma_f32 v[0:1], v[0:1], 2.0, v[50:51] op_sel_hi:[1,0,1] neg_lo:[0,0,1] neg_hi:[0,0,1]
	v_pk_fma_f32 v[4:5], v[14:15], 2.0, v[46:47] op_sel_hi:[1,0,1] neg_lo:[0,0,1] neg_hi:[0,0,1]
	v_pk_add_f32 v[16:17], v[36:37], v[16:17] neg_lo:[0,1] neg_hi:[0,1]
	v_pk_add_f32 v[42:43], v[20:21], v[42:43] neg_lo:[0,1] neg_hi:[0,1]
	v_pk_mul_f32 v[14:15], v[0:1], s[4:5] op_sel_hi:[1,0]
	v_pk_fma_f32 v[0:1], v[0:1], s[6:7], v[4:5] op_sel_hi:[1,0,1] neg_lo:[1,0,0] neg_hi:[1,0,0]
	v_pk_fma_f32 v[36:37], v[36:37], 2.0, v[16:17] op_sel_hi:[1,0,1] neg_lo:[0,0,1] neg_hi:[0,0,1]
	v_pk_fma_f32 v[20:21], v[20:21], 2.0, v[42:43] op_sel_hi:[1,0,1] neg_lo:[0,0,1] neg_hi:[0,0,1]
	v_fmamk_f32 v9, v50, 0xbf6c835e, v2
	v_fma_f32 v2, v46, 2.0, -v8
	v_pk_add_f32 v[46:47], v[0:1], v[14:15] op_sel:[0,1] op_sel_hi:[1,0]
	v_pk_add_f32 v[0:1], v[0:1], v[14:15] op_sel:[0,1] op_sel_hi:[1,0] neg_lo:[0,1] neg_hi:[0,1]
	v_or_b32_e32 v71, v71, v106
	v_pk_add_f32 v[20:21], v[36:37], v[20:21] neg_lo:[0,1] neg_hi:[0,1]
	v_mov_b32_e32 v47, v1
	v_lshlrev_b32_e32 v71, 3, v71
	v_pk_fma_f32 v[36:37], v[36:37], 2.0, v[20:21] op_sel_hi:[1,0,1] neg_lo:[0,0,1] neg_hi:[0,0,1]
	v_pk_fma_f32 v[0:1], v[4:5], 2.0, v[46:47] op_sel_hi:[1,0,1] neg_lo:[0,0,1] neg_hi:[0,0,1]
	ds_write2_b64 v71, v[36:37], v[0:1] offset1:13
	v_pk_add_f32 v[0:1], v[18:19], v[22:23] op_sel:[0,1] op_sel_hi:[1,0]
	v_pk_add_f32 v[4:5], v[18:19], v[22:23] op_sel:[0,1] op_sel_hi:[1,0] neg_lo:[0,1] neg_hi:[0,1]
	v_pk_add_f32 v[14:15], v[24:25], v[26:27] op_sel:[0,1] op_sel_hi:[1,0] neg_lo:[0,1] neg_hi:[0,1]
	v_mov_b32_e32 v1, v5
	v_pk_add_f32 v[4:5], v[24:25], v[26:27] op_sel:[0,1] op_sel_hi:[1,0]
	v_pk_fma_f32 v[18:19], v[18:19], 2.0, v[0:1] op_sel_hi:[1,0,1] neg_lo:[0,0,1] neg_hi:[0,0,1]
	v_mov_b32_e32 v5, v15
	v_pk_fma_f32 v[14:15], v[24:25], 2.0, v[4:5] op_sel_hi:[1,0,1] neg_lo:[0,0,1] neg_hi:[0,0,1]
	v_fma_f32 v3, v3, 2.0, -v9
	v_pk_mul_f32 v[22:23], v[14:15], s[2:3] op_sel_hi:[1,0]
	v_pk_fma_f32 v[14:15], v[14:15], s[2:3], v[18:19] op_sel_hi:[1,0,1] neg_lo:[1,0,0] neg_hi:[1,0,0]
	s_nop 0
	v_pk_add_f32 v[24:25], v[14:15], v[22:23] op_sel:[0,1] op_sel_hi:[1,0]
	v_pk_add_f32 v[14:15], v[14:15], v[22:23] op_sel:[0,1] op_sel_hi:[1,0] neg_lo:[0,1] neg_hi:[0,1]
	v_pk_fma_f32 v[22:23], v[44:45], s[2:3], v[6:7] op_sel_hi:[1,0,1]
	v_mov_b32_e32 v25, v15
	v_pk_fma_f32 v[14:15], v[18:19], 2.0, v[24:25] op_sel_hi:[1,0,1] neg_lo:[0,0,1] neg_hi:[0,0,1]
	v_pk_mul_f32 v[18:19], v[44:45], s[2:3] op_sel_hi:[1,0]
	s_nop 0
	v_pk_add_f32 v[26:27], v[22:23], v[18:19] op_sel:[0,1] op_sel_hi:[1,0]
	v_pk_add_f32 v[18:19], v[22:23], v[18:19] op_sel:[0,1] op_sel_hi:[1,0] neg_lo:[0,1] neg_hi:[0,1]
	v_pk_mul_f32 v[22:23], v[10:11], s[2:3] op_sel_hi:[1,0]
	v_pk_fma_f32 v[10:11], v[10:11], s[2:3], v[12:13] op_sel_hi:[1,0,1]
	v_mov_b32_e32 v27, v19
	v_pk_add_f32 v[36:37], v[10:11], v[22:23] op_sel:[0,1] op_sel_hi:[1,0]
	v_pk_add_f32 v[10:11], v[10:11], v[22:23] op_sel:[0,1] op_sel_hi:[1,0] neg_lo:[0,1] neg_hi:[0,1]
	v_fmamk_f32 v22, v36, 0x3f6c835e, v26
	v_mov_b32_e32 v37, v11
	v_fmamk_f32 v10, v11, 0x3f6c835e, v19
	v_fmamk_f32 v23, v36, 0xbec3ef15, v10
	v_fmac_f32_e32 v22, 0x3ec3ef15, v11
	v_pk_fma_f32 v[10:11], v[12:13], 2.0, v[36:37] op_sel_hi:[1,0,1] neg_lo:[0,0,1] neg_hi:[0,0,1]
	v_pk_fma_f32 v[6:7], v[6:7], 2.0, v[26:27] op_sel_hi:[1,0,1] neg_lo:[0,0,1] neg_hi:[0,0,1]
	v_pk_mul_f32 v[12:13], v[10:11], s[6:7] op_sel_hi:[1,0]
	v_pk_fma_f32 v[10:11], v[10:11], s[4:5], v[6:7] op_sel_hi:[1,0,1] neg_lo:[1,0,0] neg_hi:[1,0,0]
	v_fma_f32 v18, v26, 2.0, -v22
	v_pk_add_f32 v[26:27], v[10:11], v[12:13] op_sel:[0,1] op_sel_hi:[1,0]
	v_pk_add_f32 v[10:11], v[10:11], v[12:13] op_sel:[0,1] op_sel_hi:[1,0] neg_lo:[0,1] neg_hi:[0,1]
	v_fma_f32 v19, v19, 2.0, -v23
	v_mov_b32_e32 v27, v11
	v_pk_fma_f32 v[6:7], v[6:7], 2.0, v[26:27] op_sel_hi:[1,0,1] neg_lo:[0,0,1] neg_hi:[0,0,1]
	ds_write2_b64 v71, v[14:15], v[6:7] offset0:26 offset1:39
	v_pk_add_f32 v[6:7], v[16:17], v[42:43] op_sel:[0,1] op_sel_hi:[1,0]
	v_pk_add_f32 v[10:11], v[16:17], v[42:43] op_sel:[0,1] op_sel_hi:[1,0] neg_lo:[0,1] neg_hi:[0,1]
	s_nop 0
	v_mov_b32_e32 v7, v11
	v_pk_fma_f32 v[10:11], v[16:17], 2.0, v[6:7] op_sel_hi:[1,0,1] neg_lo:[0,0,1] neg_hi:[0,0,1]
	ds_write2_b64 v71, v[10:11], v[2:3] offset0:52 offset1:65
	v_pk_mul_f32 v[2:3], v[4:5], s[2:3] op_sel_hi:[1,0]
	v_pk_fma_f32 v[4:5], v[4:5], s[2:3], v[0:1] op_sel_hi:[1,0,1]
	s_nop 0
	v_pk_add_f32 v[10:11], v[4:5], v[2:3] op_sel:[0,1] op_sel_hi:[1,0]
	v_pk_add_f32 v[2:3], v[4:5], v[2:3] op_sel:[0,1] op_sel_hi:[1,0] neg_lo:[0,1] neg_hi:[0,1]
	s_nop 0
	v_mov_b32_e32 v11, v3
	v_pk_fma_f32 v[0:1], v[0:1], 2.0, v[10:11] op_sel_hi:[1,0,1] neg_lo:[0,0,1] neg_hi:[0,0,1]
	ds_write2_b64 v71, v[0:1], v[18:19] offset0:78 offset1:91
	ds_write2_b64 v71, v[20:21], v[46:47] offset0:104 offset1:117
	;; [unrolled: 1-line block ×5, first 2 shown]
.LBB0_23:
	s_or_b64 exec, exec, s[0:1]
	s_waitcnt lgkmcnt(0)
	s_barrier
	ds_read2_b64 v[0:3], v70 offset1:208
	v_add_u32_e32 v26, 0xc00, v70
	ds_read2_b64 v[4:7], v26 offset0:32 offset1:240
	ds_read_b64 v[8:9], v70 offset:6656
	s_mov_b32 s0, 0x3f737871
	s_mov_b32 s2, 0x3f167918
	s_waitcnt lgkmcnt(2)
	v_pk_mul_f32 v[10:11], v[32:33], v[2:3]
	s_mov_b32 s4, 0x3e9e377a
	v_pk_fma_f32 v[12:13], v[80:81], v[2:3], v[10:11] op_sel:[0,0,1] op_sel_hi:[1,1,0]
	v_pk_fma_f32 v[2:3], v[80:81], v[2:3], v[10:11] op_sel:[0,0,1] op_sel_hi:[1,1,0] neg_lo:[0,0,1] neg_hi:[0,0,1]
	s_nop 0
	v_mov_b32_e32 v13, v3
	s_waitcnt lgkmcnt(1)
	v_pk_mul_f32 v[2:3], v[34:35], v[4:5]
	s_nop 0
	v_pk_fma_f32 v[10:11], v[48:49], v[4:5], v[2:3] op_sel:[0,0,1] op_sel_hi:[1,1,0]
	v_pk_fma_f32 v[2:3], v[48:49], v[4:5], v[2:3] op_sel:[0,0,1] op_sel_hi:[1,1,0] neg_lo:[0,0,1] neg_hi:[0,0,1]
	s_nop 0
	v_mov_b32_e32 v11, v3
	v_pk_mul_f32 v[2:3], v[28:29], v[6:7]
	v_pk_add_f32 v[22:23], v[12:13], v[10:11] neg_lo:[0,1] neg_hi:[0,1]
	v_pk_fma_f32 v[4:5], v[40:41], v[6:7], v[2:3] op_sel:[0,0,1] op_sel_hi:[1,1,0]
	v_pk_fma_f32 v[2:3], v[40:41], v[6:7], v[2:3] op_sel:[0,0,1] op_sel_hi:[1,1,0] neg_lo:[0,0,1] neg_hi:[0,0,1]
	s_nop 0
	v_mov_b32_e32 v5, v3
	s_waitcnt lgkmcnt(0)
	v_pk_mul_f32 v[2:3], v[30:31], v[8:9]
	v_pk_add_f32 v[18:19], v[10:11], v[4:5] neg_lo:[0,1] neg_hi:[0,1]
	v_pk_fma_f32 v[6:7], v[38:39], v[8:9], v[2:3] op_sel:[0,0,1] op_sel_hi:[1,1,0]
	v_pk_fma_f32 v[2:3], v[38:39], v[8:9], v[2:3] op_sel:[0,0,1] op_sel_hi:[1,1,0] neg_lo:[0,0,1] neg_hi:[0,0,1]
	v_pk_add_f32 v[8:9], v[10:11], v[4:5]
	v_mov_b32_e32 v7, v3
	v_pk_add_f32 v[14:15], v[12:13], v[6:7] neg_lo:[0,1] neg_hi:[0,1]
	v_pk_fma_f32 v[8:9], v[8:9], 0.5, v[0:1] op_sel_hi:[1,0,1] neg_lo:[1,0,0] neg_hi:[1,0,0]
	v_pk_mul_f32 v[16:17], v[14:15], s[0:1] op_sel_hi:[1,0]
	v_pk_add_f32 v[24:25], v[6:7], v[4:5] neg_lo:[0,1] neg_hi:[0,1]
	v_pk_add_f32 v[2:3], v[0:1], v[12:13]
	v_pk_mul_f32 v[20:21], v[18:19], s[2:3] op_sel_hi:[1,0]
	v_pk_add_f32 v[22:23], v[22:23], v[24:25]
	v_pk_add_f32 v[24:25], v[8:9], v[16:17] op_sel:[0,1] op_sel_hi:[1,0] neg_lo:[0,1] neg_hi:[0,1]
	v_pk_add_f32 v[8:9], v[8:9], v[16:17] op_sel:[0,1] op_sel_hi:[1,0]
	v_pk_add_f32 v[2:3], v[2:3], v[10:11]
	v_pk_add_f32 v[8:9], v[8:9], v[20:21] op_sel:[0,1] op_sel_hi:[1,0]
	v_pk_add_f32 v[16:17], v[24:25], v[20:21] op_sel:[0,1] op_sel_hi:[1,0] neg_lo:[0,1] neg_hi:[0,1]
	v_pk_add_f32 v[2:3], v[2:3], v[4:5]
	v_mov_b32_e32 v20, v16
	v_mov_b32_e32 v21, v9
	v_pk_add_f32 v[2:3], v[2:3], v[6:7]
	v_pk_fma_f32 v[20:21], v[22:23], s[4:5], v[20:21] op_sel_hi:[1,0,1]
	ds_write2_b64 v70, v[2:3], v[20:21] offset1:208
	v_pk_add_f32 v[2:3], v[12:13], v[6:7]
	v_pk_add_f32 v[4:5], v[4:5], v[6:7] neg_lo:[0,1] neg_hi:[0,1]
	v_pk_fma_f32 v[0:1], v[2:3], 0.5, v[0:1] op_sel_hi:[1,0,1] neg_lo:[1,0,0] neg_hi:[1,0,0]
	v_pk_add_f32 v[2:3], v[10:11], v[12:13] neg_lo:[0,1] neg_hi:[0,1]
	v_pk_mul_f32 v[6:7], v[14:15], s[2:3] op_sel_hi:[1,0]
	v_pk_add_f32 v[2:3], v[2:3], v[4:5]
	v_pk_mul_f32 v[4:5], v[18:19], s[0:1] op_sel_hi:[1,0]
	v_mov_b32_e32 v9, v17
	v_pk_add_f32 v[10:11], v[0:1], v[4:5] op_sel:[0,1] op_sel_hi:[1,0]
	v_pk_add_f32 v[0:1], v[0:1], v[4:5] op_sel:[0,1] op_sel_hi:[1,0] neg_lo:[0,1] neg_hi:[0,1]
	v_pk_add_f32 v[4:5], v[10:11], v[6:7] op_sel:[0,1] op_sel_hi:[1,0] neg_lo:[0,1] neg_hi:[0,1]
	v_pk_add_f32 v[0:1], v[0:1], v[6:7] op_sel:[0,1] op_sel_hi:[1,0]
	v_mov_b32_e32 v6, v4
	v_mov_b32_e32 v7, v1
	;; [unrolled: 1-line block ×3, first 2 shown]
	v_pk_fma_f32 v[6:7], v[2:3], s[4:5], v[6:7] op_sel_hi:[1,0,1]
	v_pk_fma_f32 v[0:1], v[2:3], s[4:5], v[0:1] op_sel_hi:[1,0,1]
	ds_write2_b64 v26, v[6:7], v[0:1] offset0:32 offset1:240
	v_pk_fma_f32 v[0:1], v[22:23], s[4:5], v[8:9] op_sel_hi:[1,0,1]
	ds_write_b64 v70, v[0:1] offset:6656
	s_waitcnt lgkmcnt(0)
	s_barrier
	s_and_b64 exec, exec, vcc
	s_cbranch_execz .LBB0_25
; %bb.24:
	global_load_dwordx2 v[8:9], v70, s[12:13]
	global_load_dwordx2 v[10:11], v70, s[12:13] offset:640
	global_load_dwordx2 v[12:13], v70, s[12:13] offset:1280
	;; [unrolled: 1-line block ×3, first 2 shown]
	ds_read_b64 v[16:17], v70
	global_load_dwordx2 v[24:25], v70, s[12:13] offset:2560
	ds_read2_b64 v[0:3], v70 offset0:80 offset1:160
	global_load_dwordx2 v[26:27], v70, s[12:13] offset:3200
	global_load_dwordx2 v[28:29], v70, s[12:13] offset:3840
	v_mov_b32_e32 v71, 0
	v_mad_u64_u32 v[22:23], s[2:3], s8, v73, 0
	s_movk_i32 s3, 0x1000
	v_lshl_add_u64 v[32:33], s[12:13], 0, v[70:71]
	v_mov_b32_e32 v34, v23
	v_mad_u64_u32 v[20:21], s[0:1], s10, v72, 0
	v_or_b32_e32 v41, 0x280, v73
	v_mad_u64_u32 v[34:35], s[4:5], s9, v73, v[34:35]
	v_add_co_u32_e32 v32, vcc, s3, v32
	v_mov_b32_e32 v30, v21
	v_lshlrev_b32_e32 v21, 3, v41
	v_addc_co_u32_e32 v33, vcc, 0, v33, vcc
	v_mov_b32_e32 v23, v34
	global_load_dwordx2 v[36:37], v21, s[12:13]
	v_mad_u64_u32 v[30:31], s[4:5], s11, v72, v[30:31]
	v_mov_b32_e32 v18, s16
	v_mov_b32_e32 v19, s17
	v_add_u32_e32 v4, 0x400, v70
	ds_read2_b64 v[4:7], v4 offset0:112 offset1:192
	s_mov_b32 s0, 0x1f81f820
	v_mov_b32_e32 v40, 0x280
	s_mov_b32 s1, 0x3f4f81f8
	s_mul_i32 s2, s9, 0x280
	s_mul_i32 s3, s9, 0x500
	s_waitcnt vmcnt(7) lgkmcnt(2)
	v_mul_f32_e32 v34, v17, v9
	s_waitcnt vmcnt(6) lgkmcnt(1)
	v_mul_f32_e32 v35, v1, v11
	v_mul_f32_e32 v11, v0, v11
	;; [unrolled: 1-line block ×3, first 2 shown]
	v_fmac_f32_e32 v34, v16, v8
	v_fmac_f32_e32 v35, v0, v10
	v_fma_f32 v16, v10, v1, -v11
	global_load_dwordx2 v[10:11], v[32:33], off offset:384
	v_mov_b32_e32 v21, v30
	v_lshl_add_u64 v[18:19], v[20:21], 3, v[18:19]
	v_lshl_add_u64 v[20:21], v[22:23], 3, v[18:19]
	s_waitcnt vmcnt(6)
	v_mul_f32_e32 v38, v3, v13
	v_mul_f32_e32 v13, v2, v13
	v_fma_f32 v8, v8, v17, -v9
	v_mad_u64_u32 v[22:23], s[4:5], s8, v40, v[20:21]
	v_fmac_f32_e32 v38, v2, v12
	v_fma_f32 v42, v12, v3, -v13
	v_cvt_f64_f32_e32 v[0:1], v34
	v_cvt_f64_f32_e32 v[2:3], v8
	v_add_u32_e32 v23, s2, v23
	v_cvt_f64_f32_e32 v[8:9], v35
	v_cvt_f64_f32_e32 v[12:13], v16
	;; [unrolled: 1-line block ×4, first 2 shown]
	v_mul_f64 v[0:1], v[0:1], s[0:1]
	v_mul_f64 v[2:3], v[2:3], s[0:1]
	v_mad_u64_u32 v[30:31], s[4:5], s8, v40, v[22:23]
	v_mul_f64 v[8:9], v[8:9], s[0:1]
	v_mul_f64 v[12:13], v[12:13], s[0:1]
	;; [unrolled: 1-line block ×4, first 2 shown]
	v_cvt_f32_f64_e32 v0, v[0:1]
	v_cvt_f32_f64_e32 v1, v[2:3]
	v_add_u32_e32 v31, s2, v31
	v_cvt_f32_f64_e32 v2, v[8:9]
	v_cvt_f32_f64_e32 v3, v[12:13]
	;; [unrolled: 1-line block ×4, first 2 shown]
	global_store_dwordx2 v[20:21], v[0:1], off
	global_store_dwordx2 v[22:23], v[2:3], off
	;; [unrolled: 1-line block ×3, first 2 shown]
	s_waitcnt vmcnt(8) lgkmcnt(0)
	v_mul_f32_e32 v0, v4, v15
	v_fma_f32 v0, v14, v5, -v0
	v_cvt_f64_f32_e32 v[0:1], v0
	v_mul_f32_e32 v39, v5, v15
	v_mul_f64 v[0:1], v[0:1], s[0:1]
	v_fmac_f32_e32 v39, v4, v14
	v_cvt_f32_f64_e32 v13, v[0:1]
	s_waitcnt vmcnt(7)
	v_mul_f32_e32 v0, v7, v25
	v_cvt_f64_f32_e32 v[38:39], v39
	v_fmac_f32_e32 v0, v6, v24
	v_mul_f64 v[38:39], v[38:39], s[0:1]
	v_mad_u64_u32 v[4:5], s[4:5], s8, v40, v[30:31]
	v_cvt_f64_f32_e32 v[0:1], v0
	v_cvt_f32_f64_e32 v12, v[38:39]
	v_add_u32_e32 v5, s2, v5
	v_mul_f64 v[0:1], v[0:1], s[0:1]
	global_load_dwordx2 v[8:9], v[32:33], off offset:1664
	s_nop 0
	global_store_dwordx2 v[4:5], v[12:13], off
	v_cvt_f32_f64_e32 v12, v[0:1]
	v_mul_f32_e32 v0, v6, v25
	v_fma_f32 v0, v24, v7, -v0
	v_cvt_f64_f32_e32 v[0:1], v0
	v_mul_f64 v[0:1], v[0:1], s[0:1]
	v_mad_u64_u32 v[4:5], s[4:5], s8, v40, v[4:5]
	v_cvt_f32_f64_e32 v13, v[0:1]
	v_add_u32_e32 v0, 0x800, v70
	v_add_u32_e32 v5, s2, v5
	ds_read2_b64 v[0:3], v0 offset0:144 offset1:224
	global_store_dwordx2 v[4:5], v[12:13], off
	global_load_dwordx2 v[12:13], v[32:33], off offset:2304
	v_mad_u64_u32 v[4:5], s[4:5], s8, v40, v[4:5]
	s_waitcnt vmcnt(10) lgkmcnt(0)
	v_mul_f32_e32 v6, v1, v27
	v_fmac_f32_e32 v6, v0, v26
	v_mul_f32_e32 v0, v0, v27
	v_fma_f32 v0, v26, v1, -v0
	v_cvt_f64_f32_e32 v[6:7], v6
	v_cvt_f64_f32_e32 v[0:1], v0
	v_mul_f64 v[6:7], v[6:7], s[0:1]
	v_mul_f64 v[0:1], v[0:1], s[0:1]
	v_cvt_f32_f64_e32 v6, v[6:7]
	v_cvt_f32_f64_e32 v7, v[0:1]
	s_waitcnt vmcnt(9)
	v_mul_f32_e32 v0, v3, v29
	v_fmac_f32_e32 v0, v2, v28
	v_cvt_f64_f32_e32 v[0:1], v0
	v_add_u32_e32 v5, s2, v5
	v_mul_f64 v[0:1], v[0:1], s[0:1]
	global_store_dwordx2 v[4:5], v[6:7], off
	global_load_dwordx2 v[6:7], v[32:33], off offset:2944
	v_cvt_f32_f64_e32 v14, v[0:1]
	v_mul_f32_e32 v0, v2, v29
	v_fma_f32 v0, v28, v3, -v0
	v_cvt_f64_f32_e32 v[0:1], v0
	v_mul_f64 v[0:1], v[0:1], s[0:1]
	v_mad_u64_u32 v[4:5], s[4:5], s8, v40, v[4:5]
	v_cvt_f32_f64_e32 v15, v[0:1]
	v_add_u32_e32 v5, s2, v5
	global_store_dwordx2 v[4:5], v[14:15], off
	global_load_dwordx2 v[14:15], v[32:33], off offset:3584
	v_add_u32_e32 v0, 0x1000, v70
	ds_read2_b64 v[0:3], v0 offset0:48 offset1:128
	v_mad_u64_u32 v[4:5], s[4:5], s8, v40, v[4:5]
	v_add_u32_e32 v5, s2, v5
	s_waitcnt vmcnt(11) lgkmcnt(0)
	v_mul_f32_e32 v16, v1, v11
	v_fmac_f32_e32 v16, v0, v10
	v_mul_f32_e32 v0, v0, v11
	v_fma_f32 v0, v10, v1, -v0
	v_cvt_f64_f32_e32 v[16:17], v16
	v_cvt_f64_f32_e32 v[0:1], v0
	v_mul_f64 v[16:17], v[16:17], s[0:1]
	v_mul_f64 v[0:1], v[0:1], s[0:1]
	v_cvt_f32_f64_e32 v16, v[16:17]
	v_cvt_f32_f64_e32 v17, v[0:1]
	v_mul_f32_e32 v0, v3, v37
	v_fmac_f32_e32 v0, v2, v36
	v_cvt_f64_f32_e32 v[0:1], v0
	v_mul_f64 v[0:1], v[0:1], s[0:1]
	v_cvt_f32_f64_e32 v10, v[0:1]
	v_mul_f32_e32 v0, v2, v37
	v_fma_f32 v0, v36, v3, -v0
	v_cvt_f64_f32_e32 v[0:1], v0
	v_mul_f64 v[0:1], v[0:1], s[0:1]
	v_cvt_f32_f64_e32 v11, v[0:1]
	v_add_u32_e32 v0, 0x1400, v70
	global_store_dwordx2 v[4:5], v[16:17], off
	v_mad_u64_u32 v[16:17], s[4:5], s8, v41, 0
	ds_read2_b64 v[0:3], v0 offset0:80 offset1:160
	v_mov_b32_e32 v20, v17
	v_mad_u64_u32 v[20:21], s[4:5], s9, v41, v[20:21]
	v_mov_b32_e32 v17, v20
	v_lshl_add_u64 v[16:17], v[16:17], 3, v[18:19]
	global_store_dwordx2 v[16:17], v[10:11], off
	s_waitcnt vmcnt(9) lgkmcnt(0)
	v_mul_f32_e32 v10, v1, v9
	v_fmac_f32_e32 v10, v0, v8
	v_mul_f32_e32 v0, v0, v9
	v_fma_f32 v0, v8, v1, -v0
	v_cvt_f64_f32_e32 v[10:11], v10
	v_cvt_f64_f32_e32 v[0:1], v0
	v_mul_f64 v[10:11], v[10:11], s[0:1]
	v_mul_f64 v[0:1], v[0:1], s[0:1]
	v_cvt_f32_f64_e32 v10, v[10:11]
	v_cvt_f32_f64_e32 v11, v[0:1]
	v_mov_b32_e32 v0, 0x500
	v_mad_u64_u32 v[4:5], s[4:5], s8, v0, v[4:5]
	s_waitcnt vmcnt(6)
	v_mul_f32_e32 v0, v3, v13
	v_fmac_f32_e32 v0, v2, v12
	v_cvt_f64_f32_e32 v[0:1], v0
	v_mul_f64 v[0:1], v[0:1], s[0:1]
	v_cvt_f32_f64_e32 v8, v[0:1]
	v_mul_f32_e32 v0, v2, v13
	v_fma_f32 v0, v12, v3, -v0
	v_cvt_f64_f32_e32 v[0:1], v0
	v_mul_f64 v[0:1], v[0:1], s[0:1]
	v_cvt_f32_f64_e32 v9, v[0:1]
	v_add_u32_e32 v0, 0x1800, v70
	ds_read2_b64 v[0:3], v0 offset0:112 offset1:192
	v_add_u32_e32 v5, s3, v5
	global_store_dwordx2 v[4:5], v[10:11], off
	v_mad_u64_u32 v[4:5], s[4:5], s8, v40, v[4:5]
	v_add_u32_e32 v5, s2, v5
	global_store_dwordx2 v[4:5], v[8:9], off
	s_waitcnt vmcnt(6) lgkmcnt(0)
	v_mul_f32_e32 v8, v1, v7
	v_fmac_f32_e32 v8, v0, v6
	v_mul_f32_e32 v0, v0, v7
	v_fma_f32 v0, v6, v1, -v0
	v_cvt_f64_f32_e32 v[8:9], v8
	v_cvt_f64_f32_e32 v[0:1], v0
	v_mul_f64 v[8:9], v[8:9], s[0:1]
	v_mul_f64 v[0:1], v[0:1], s[0:1]
	v_cvt_f32_f64_e32 v8, v[8:9]
	v_cvt_f32_f64_e32 v9, v[0:1]
	v_mad_u64_u32 v[0:1], s[4:5], s8, v40, v[4:5]
	s_waitcnt vmcnt(4)
	v_mul_f32_e32 v4, v3, v15
	v_fmac_f32_e32 v4, v2, v14
	v_mul_f32_e32 v2, v2, v15
	v_fma_f32 v2, v14, v3, -v2
	v_add_u32_e32 v1, s2, v1
	v_cvt_f64_f32_e32 v[4:5], v4
	v_cvt_f64_f32_e32 v[2:3], v2
	global_store_dwordx2 v[0:1], v[8:9], off
	v_mul_f64 v[4:5], v[4:5], s[0:1]
	v_mul_f64 v[2:3], v[2:3], s[0:1]
	v_mad_u64_u32 v[0:1], s[0:1], s8, v40, v[0:1]
	v_cvt_f32_f64_e32 v4, v[4:5]
	v_cvt_f32_f64_e32 v5, v[2:3]
	v_add_u32_e32 v1, s2, v1
	global_store_dwordx2 v[0:1], v[4:5], off
.LBB0_25:
	s_endpgm
	.section	.rodata,"a",@progbits
	.p2align	6, 0x0
	.amdhsa_kernel bluestein_single_back_len1040_dim1_sp_op_CI_CI
		.amdhsa_group_segment_fixed_size 8320
		.amdhsa_private_segment_fixed_size 0
		.amdhsa_kernarg_size 104
		.amdhsa_user_sgpr_count 2
		.amdhsa_user_sgpr_dispatch_ptr 0
		.amdhsa_user_sgpr_queue_ptr 0
		.amdhsa_user_sgpr_kernarg_segment_ptr 1
		.amdhsa_user_sgpr_dispatch_id 0
		.amdhsa_user_sgpr_kernarg_preload_length 0
		.amdhsa_user_sgpr_kernarg_preload_offset 0
		.amdhsa_user_sgpr_private_segment_size 0
		.amdhsa_uses_dynamic_stack 0
		.amdhsa_enable_private_segment 0
		.amdhsa_system_sgpr_workgroup_id_x 1
		.amdhsa_system_sgpr_workgroup_id_y 0
		.amdhsa_system_sgpr_workgroup_id_z 0
		.amdhsa_system_sgpr_workgroup_info 0
		.amdhsa_system_vgpr_workitem_id 0
		.amdhsa_next_free_vgpr 192
		.amdhsa_next_free_sgpr 50
		.amdhsa_accum_offset 192
		.amdhsa_reserve_vcc 1
		.amdhsa_float_round_mode_32 0
		.amdhsa_float_round_mode_16_64 0
		.amdhsa_float_denorm_mode_32 3
		.amdhsa_float_denorm_mode_16_64 3
		.amdhsa_dx10_clamp 1
		.amdhsa_ieee_mode 1
		.amdhsa_fp16_overflow 0
		.amdhsa_tg_split 0
		.amdhsa_exception_fp_ieee_invalid_op 0
		.amdhsa_exception_fp_denorm_src 0
		.amdhsa_exception_fp_ieee_div_zero 0
		.amdhsa_exception_fp_ieee_overflow 0
		.amdhsa_exception_fp_ieee_underflow 0
		.amdhsa_exception_fp_ieee_inexact 0
		.amdhsa_exception_int_div_zero 0
	.end_amdhsa_kernel
	.text
.Lfunc_end0:
	.size	bluestein_single_back_len1040_dim1_sp_op_CI_CI, .Lfunc_end0-bluestein_single_back_len1040_dim1_sp_op_CI_CI
                                        ; -- End function
	.section	.AMDGPU.csdata,"",@progbits
; Kernel info:
; codeLenInByte = 14364
; NumSgprs: 56
; NumVgprs: 192
; NumAgprs: 0
; TotalNumVgprs: 192
; ScratchSize: 0
; MemoryBound: 0
; FloatMode: 240
; IeeeMode: 1
; LDSByteSize: 8320 bytes/workgroup (compile time only)
; SGPRBlocks: 6
; VGPRBlocks: 23
; NumSGPRsForWavesPerEU: 56
; NumVGPRsForWavesPerEU: 192
; AccumOffset: 192
; Occupancy: 2
; WaveLimiterHint : 1
; COMPUTE_PGM_RSRC2:SCRATCH_EN: 0
; COMPUTE_PGM_RSRC2:USER_SGPR: 2
; COMPUTE_PGM_RSRC2:TRAP_HANDLER: 0
; COMPUTE_PGM_RSRC2:TGID_X_EN: 1
; COMPUTE_PGM_RSRC2:TGID_Y_EN: 0
; COMPUTE_PGM_RSRC2:TGID_Z_EN: 0
; COMPUTE_PGM_RSRC2:TIDIG_COMP_CNT: 0
; COMPUTE_PGM_RSRC3_GFX90A:ACCUM_OFFSET: 47
; COMPUTE_PGM_RSRC3_GFX90A:TG_SPLIT: 0
	.text
	.p2alignl 6, 3212836864
	.fill 256, 4, 3212836864
	.type	__hip_cuid_8a474b2f880a9db5,@object ; @__hip_cuid_8a474b2f880a9db5
	.section	.bss,"aw",@nobits
	.globl	__hip_cuid_8a474b2f880a9db5
__hip_cuid_8a474b2f880a9db5:
	.byte	0                               ; 0x0
	.size	__hip_cuid_8a474b2f880a9db5, 1

	.ident	"AMD clang version 19.0.0git (https://github.com/RadeonOpenCompute/llvm-project roc-6.4.0 25133 c7fe45cf4b819c5991fe208aaa96edf142730f1d)"
	.section	".note.GNU-stack","",@progbits
	.addrsig
	.addrsig_sym __hip_cuid_8a474b2f880a9db5
	.amdgpu_metadata
---
amdhsa.kernels:
  - .agpr_count:     0
    .args:
      - .actual_access:  read_only
        .address_space:  global
        .offset:         0
        .size:           8
        .value_kind:     global_buffer
      - .actual_access:  read_only
        .address_space:  global
        .offset:         8
        .size:           8
        .value_kind:     global_buffer
      - .actual_access:  read_only
        .address_space:  global
        .offset:         16
        .size:           8
        .value_kind:     global_buffer
      - .actual_access:  read_only
        .address_space:  global
        .offset:         24
        .size:           8
        .value_kind:     global_buffer
      - .actual_access:  read_only
        .address_space:  global
        .offset:         32
        .size:           8
        .value_kind:     global_buffer
      - .offset:         40
        .size:           8
        .value_kind:     by_value
      - .address_space:  global
        .offset:         48
        .size:           8
        .value_kind:     global_buffer
      - .address_space:  global
        .offset:         56
        .size:           8
        .value_kind:     global_buffer
      - .address_space:  global
        .offset:         64
        .size:           8
        .value_kind:     global_buffer
      - .address_space:  global
        .offset:         72
        .size:           8
        .value_kind:     global_buffer
      - .offset:         80
        .size:           4
        .value_kind:     by_value
      - .address_space:  global
        .offset:         88
        .size:           8
        .value_kind:     global_buffer
      - .address_space:  global
        .offset:         96
        .size:           8
        .value_kind:     global_buffer
    .group_segment_fixed_size: 8320
    .kernarg_segment_align: 8
    .kernarg_segment_size: 104
    .language:       OpenCL C
    .language_version:
      - 2
      - 0
    .max_flat_workgroup_size: 208
    .name:           bluestein_single_back_len1040_dim1_sp_op_CI_CI
    .private_segment_fixed_size: 0
    .sgpr_count:     56
    .sgpr_spill_count: 0
    .symbol:         bluestein_single_back_len1040_dim1_sp_op_CI_CI.kd
    .uniform_work_group_size: 1
    .uses_dynamic_stack: false
    .vgpr_count:     192
    .vgpr_spill_count: 0
    .wavefront_size: 64
amdhsa.target:   amdgcn-amd-amdhsa--gfx950
amdhsa.version:
  - 1
  - 2
...

	.end_amdgpu_metadata
